;; amdgpu-corpus repo=ROCm/rocFFT kind=compiled arch=gfx906 opt=O3
	.text
	.amdgcn_target "amdgcn-amd-amdhsa--gfx906"
	.amdhsa_code_object_version 6
	.protected	fft_rtc_back_len1092_factors_2_2_13_7_3_wgs_52_tpt_52_halfLds_sp_ip_CI_sbrr_dirReg ; -- Begin function fft_rtc_back_len1092_factors_2_2_13_7_3_wgs_52_tpt_52_halfLds_sp_ip_CI_sbrr_dirReg
	.globl	fft_rtc_back_len1092_factors_2_2_13_7_3_wgs_52_tpt_52_halfLds_sp_ip_CI_sbrr_dirReg
	.p2align	8
	.type	fft_rtc_back_len1092_factors_2_2_13_7_3_wgs_52_tpt_52_halfLds_sp_ip_CI_sbrr_dirReg,@function
fft_rtc_back_len1092_factors_2_2_13_7_3_wgs_52_tpt_52_halfLds_sp_ip_CI_sbrr_dirReg: ; @fft_rtc_back_len1092_factors_2_2_13_7_3_wgs_52_tpt_52_halfLds_sp_ip_CI_sbrr_dirReg
; %bb.0:
	s_load_dwordx2 s[2:3], s[4:5], 0x18
	s_load_dwordx4 s[8:11], s[4:5], 0x0
	s_load_dwordx2 s[14:15], s[4:5], 0x50
	v_mul_u32_u24_e32 v1, 0x4ed, v0
	v_add_u32_sdwa v5, s6, v1 dst_sel:DWORD dst_unused:UNUSED_PAD src0_sel:DWORD src1_sel:WORD_1
	s_waitcnt lgkmcnt(0)
	s_load_dwordx2 s[12:13], s[2:3], 0x0
	v_cmp_lt_u64_e64 s[0:1], s[10:11], 2
	v_mov_b32_e32 v3, 0
	v_mov_b32_e32 v1, 0
	;; [unrolled: 1-line block ×3, first 2 shown]
	s_and_b64 vcc, exec, s[0:1]
	v_mov_b32_e32 v2, 0
	s_cbranch_vccnz .LBB0_8
; %bb.1:
	s_load_dwordx2 s[0:1], s[4:5], 0x10
	s_add_u32 s6, s2, 8
	s_addc_u32 s7, s3, 0
	v_mov_b32_e32 v1, 0
	v_mov_b32_e32 v2, 0
	s_waitcnt lgkmcnt(0)
	s_add_u32 s16, s0, 8
	s_addc_u32 s17, s1, 0
	s_mov_b64 s[18:19], 1
.LBB0_2:                                ; =>This Inner Loop Header: Depth=1
	s_load_dwordx2 s[20:21], s[16:17], 0x0
                                        ; implicit-def: $vgpr7_vgpr8
	s_waitcnt lgkmcnt(0)
	v_or_b32_e32 v4, s21, v6
	v_cmp_ne_u64_e32 vcc, 0, v[3:4]
	s_and_saveexec_b64 s[0:1], vcc
	s_xor_b64 s[22:23], exec, s[0:1]
	s_cbranch_execz .LBB0_4
; %bb.3:                                ;   in Loop: Header=BB0_2 Depth=1
	v_cvt_f32_u32_e32 v4, s20
	v_cvt_f32_u32_e32 v7, s21
	s_sub_u32 s0, 0, s20
	s_subb_u32 s1, 0, s21
	v_mac_f32_e32 v4, 0x4f800000, v7
	v_rcp_f32_e32 v4, v4
	v_mul_f32_e32 v4, 0x5f7ffffc, v4
	v_mul_f32_e32 v7, 0x2f800000, v4
	v_trunc_f32_e32 v7, v7
	v_mac_f32_e32 v4, 0xcf800000, v7
	v_cvt_u32_f32_e32 v7, v7
	v_cvt_u32_f32_e32 v4, v4
	v_mul_lo_u32 v8, s0, v7
	v_mul_hi_u32 v9, s0, v4
	v_mul_lo_u32 v11, s1, v4
	v_mul_lo_u32 v10, s0, v4
	v_add_u32_e32 v8, v9, v8
	v_add_u32_e32 v8, v8, v11
	v_mul_hi_u32 v9, v4, v10
	v_mul_lo_u32 v11, v4, v8
	v_mul_hi_u32 v13, v4, v8
	v_mul_hi_u32 v12, v7, v10
	v_mul_lo_u32 v10, v7, v10
	v_mul_hi_u32 v14, v7, v8
	v_add_co_u32_e32 v9, vcc, v9, v11
	v_addc_co_u32_e32 v11, vcc, 0, v13, vcc
	v_mul_lo_u32 v8, v7, v8
	v_add_co_u32_e32 v9, vcc, v9, v10
	v_addc_co_u32_e32 v9, vcc, v11, v12, vcc
	v_addc_co_u32_e32 v10, vcc, 0, v14, vcc
	v_add_co_u32_e32 v8, vcc, v9, v8
	v_addc_co_u32_e32 v9, vcc, 0, v10, vcc
	v_add_co_u32_e32 v4, vcc, v4, v8
	v_addc_co_u32_e32 v7, vcc, v7, v9, vcc
	v_mul_lo_u32 v8, s0, v7
	v_mul_hi_u32 v9, s0, v4
	v_mul_lo_u32 v10, s1, v4
	v_mul_lo_u32 v11, s0, v4
	v_add_u32_e32 v8, v9, v8
	v_add_u32_e32 v8, v8, v10
	v_mul_lo_u32 v12, v4, v8
	v_mul_hi_u32 v13, v4, v11
	v_mul_hi_u32 v14, v4, v8
	;; [unrolled: 1-line block ×3, first 2 shown]
	v_mul_lo_u32 v11, v7, v11
	v_mul_hi_u32 v9, v7, v8
	v_add_co_u32_e32 v12, vcc, v13, v12
	v_addc_co_u32_e32 v13, vcc, 0, v14, vcc
	v_mul_lo_u32 v8, v7, v8
	v_add_co_u32_e32 v11, vcc, v12, v11
	v_addc_co_u32_e32 v10, vcc, v13, v10, vcc
	v_addc_co_u32_e32 v9, vcc, 0, v9, vcc
	v_add_co_u32_e32 v8, vcc, v10, v8
	v_addc_co_u32_e32 v9, vcc, 0, v9, vcc
	v_add_co_u32_e32 v4, vcc, v4, v8
	v_addc_co_u32_e32 v9, vcc, v7, v9, vcc
	v_mad_u64_u32 v[7:8], s[0:1], v5, v9, 0
	v_mul_hi_u32 v10, v5, v4
	v_add_co_u32_e32 v11, vcc, v10, v7
	v_addc_co_u32_e32 v12, vcc, 0, v8, vcc
	v_mad_u64_u32 v[7:8], s[0:1], v6, v4, 0
	v_mad_u64_u32 v[9:10], s[0:1], v6, v9, 0
	v_add_co_u32_e32 v4, vcc, v11, v7
	v_addc_co_u32_e32 v4, vcc, v12, v8, vcc
	v_addc_co_u32_e32 v7, vcc, 0, v10, vcc
	v_add_co_u32_e32 v4, vcc, v4, v9
	v_addc_co_u32_e32 v9, vcc, 0, v7, vcc
	v_mul_lo_u32 v10, s21, v4
	v_mul_lo_u32 v11, s20, v9
	v_mad_u64_u32 v[7:8], s[0:1], s20, v4, 0
	v_add3_u32 v8, v8, v11, v10
	v_sub_u32_e32 v10, v6, v8
	v_mov_b32_e32 v11, s21
	v_sub_co_u32_e32 v7, vcc, v5, v7
	v_subb_co_u32_e64 v10, s[0:1], v10, v11, vcc
	v_subrev_co_u32_e64 v11, s[0:1], s20, v7
	v_subbrev_co_u32_e64 v10, s[0:1], 0, v10, s[0:1]
	v_cmp_le_u32_e64 s[0:1], s21, v10
	v_cndmask_b32_e64 v12, 0, -1, s[0:1]
	v_cmp_le_u32_e64 s[0:1], s20, v11
	v_cndmask_b32_e64 v11, 0, -1, s[0:1]
	v_cmp_eq_u32_e64 s[0:1], s21, v10
	v_cndmask_b32_e64 v10, v12, v11, s[0:1]
	v_add_co_u32_e64 v11, s[0:1], 2, v4
	v_addc_co_u32_e64 v12, s[0:1], 0, v9, s[0:1]
	v_add_co_u32_e64 v13, s[0:1], 1, v4
	v_addc_co_u32_e64 v14, s[0:1], 0, v9, s[0:1]
	v_subb_co_u32_e32 v8, vcc, v6, v8, vcc
	v_cmp_ne_u32_e64 s[0:1], 0, v10
	v_cmp_le_u32_e32 vcc, s21, v8
	v_cndmask_b32_e64 v10, v14, v12, s[0:1]
	v_cndmask_b32_e64 v12, 0, -1, vcc
	v_cmp_le_u32_e32 vcc, s20, v7
	v_cndmask_b32_e64 v7, 0, -1, vcc
	v_cmp_eq_u32_e32 vcc, s21, v8
	v_cndmask_b32_e32 v7, v12, v7, vcc
	v_cmp_ne_u32_e32 vcc, 0, v7
	v_cndmask_b32_e64 v7, v13, v11, s[0:1]
	v_cndmask_b32_e32 v8, v9, v10, vcc
	v_cndmask_b32_e32 v7, v4, v7, vcc
.LBB0_4:                                ;   in Loop: Header=BB0_2 Depth=1
	s_andn2_saveexec_b64 s[0:1], s[22:23]
	s_cbranch_execz .LBB0_6
; %bb.5:                                ;   in Loop: Header=BB0_2 Depth=1
	v_cvt_f32_u32_e32 v4, s20
	s_sub_i32 s22, 0, s20
	v_rcp_iflag_f32_e32 v4, v4
	v_mul_f32_e32 v4, 0x4f7ffffe, v4
	v_cvt_u32_f32_e32 v4, v4
	v_mul_lo_u32 v7, s22, v4
	v_mul_hi_u32 v7, v4, v7
	v_add_u32_e32 v4, v4, v7
	v_mul_hi_u32 v4, v5, v4
	v_mul_lo_u32 v7, v4, s20
	v_add_u32_e32 v8, 1, v4
	v_sub_u32_e32 v7, v5, v7
	v_subrev_u32_e32 v9, s20, v7
	v_cmp_le_u32_e32 vcc, s20, v7
	v_cndmask_b32_e32 v7, v7, v9, vcc
	v_cndmask_b32_e32 v4, v4, v8, vcc
	v_add_u32_e32 v8, 1, v4
	v_cmp_le_u32_e32 vcc, s20, v7
	v_cndmask_b32_e32 v7, v4, v8, vcc
	v_mov_b32_e32 v8, v3
.LBB0_6:                                ;   in Loop: Header=BB0_2 Depth=1
	s_or_b64 exec, exec, s[0:1]
	v_mul_lo_u32 v4, v8, s20
	v_mul_lo_u32 v11, v7, s21
	v_mad_u64_u32 v[9:10], s[0:1], v7, s20, 0
	s_load_dwordx2 s[0:1], s[6:7], 0x0
	s_add_u32 s18, s18, 1
	v_add3_u32 v4, v10, v11, v4
	v_sub_co_u32_e32 v5, vcc, v5, v9
	v_subb_co_u32_e32 v4, vcc, v6, v4, vcc
	s_waitcnt lgkmcnt(0)
	v_mul_lo_u32 v4, s0, v4
	v_mul_lo_u32 v6, s1, v5
	v_mad_u64_u32 v[1:2], s[0:1], s0, v5, v[1:2]
	s_addc_u32 s19, s19, 0
	s_add_u32 s6, s6, 8
	v_add3_u32 v2, v6, v2, v4
	v_mov_b32_e32 v4, s10
	v_mov_b32_e32 v5, s11
	s_addc_u32 s7, s7, 0
	v_cmp_ge_u64_e32 vcc, s[18:19], v[4:5]
	s_add_u32 s16, s16, 8
	s_addc_u32 s17, s17, 0
	s_cbranch_vccnz .LBB0_9
; %bb.7:                                ;   in Loop: Header=BB0_2 Depth=1
	v_mov_b32_e32 v5, v7
	v_mov_b32_e32 v6, v8
	s_branch .LBB0_2
.LBB0_8:
	v_mov_b32_e32 v8, v6
	v_mov_b32_e32 v7, v5
.LBB0_9:
	s_lshl_b64 s[0:1], s[10:11], 3
	s_add_u32 s0, s2, s0
	s_addc_u32 s1, s3, s1
	s_load_dwordx2 s[2:3], s[0:1], 0x0
	s_load_dwordx2 s[6:7], s[4:5], 0x20
                                        ; implicit-def: $sgpr4
                                        ; implicit-def: $vgpr72
                                        ; implicit-def: $vgpr65
                                        ; implicit-def: $vgpr10
                                        ; implicit-def: $vgpr14
                                        ; implicit-def: $vgpr59
                                        ; implicit-def: $vgpr58
                                        ; implicit-def: $vgpr60
                                        ; implicit-def: $vgpr73
                                        ; implicit-def: $vgpr74
	s_waitcnt lgkmcnt(0)
	v_mad_u64_u32 v[1:2], s[0:1], s2, v7, v[1:2]
	s_mov_b32 s0, 0x4ec4ec5
	v_mul_lo_u32 v3, s2, v8
	v_mul_lo_u32 v4, s3, v7
	v_mul_hi_u32 v5, v0, s0
	v_cmp_gt_u64_e32 vcc, s[6:7], v[7:8]
	v_cmp_le_u64_e64 s[0:1], s[6:7], v[7:8]
	v_add3_u32 v2, v4, v2, v3
	v_mul_u32_u24_e32 v3, 52, v5
	v_sub_u32_e32 v61, v0, v3
	v_add_u32_e32 v62, 52, v61
	s_and_saveexec_b64 s[2:3], s[0:1]
	s_xor_b64 s[0:1], exec, s[2:3]
; %bb.10:
	v_add_u32_e32 v72, 52, v61
	v_add_u32_e32 v65, 0x68, v61
	;; [unrolled: 1-line block ×9, first 2 shown]
	s_mov_b32 s4, 0
; %bb.11:
	s_or_saveexec_b64 s[2:3], s[0:1]
	v_lshlrev_b64 v[0:1], 3, v[1:2]
	v_mov_b32_e32 v31, s4
	v_mov_b32_e32 v30, s4
                                        ; implicit-def: $vgpr3
                                        ; implicit-def: $vgpr5
                                        ; implicit-def: $vgpr7
                                        ; implicit-def: $vgpr9
                                        ; implicit-def: $vgpr13
                                        ; implicit-def: $vgpr25
                                        ; implicit-def: $vgpr27
                                        ; implicit-def: $vgpr29
                                        ; implicit-def: $vgpr33
                                        ; implicit-def: $vgpr37
                                        ; implicit-def: $vgpr35
                                        ; implicit-def: $vgpr41
                                        ; implicit-def: $vgpr39
                                        ; implicit-def: $vgpr45
                                        ; implicit-def: $vgpr43
                                        ; implicit-def: $vgpr49
                                        ; implicit-def: $vgpr47
                                        ; implicit-def: $vgpr53
                                        ; implicit-def: $vgpr51
                                        ; implicit-def: $vgpr55
                                        ; implicit-def: $vgpr57
	s_xor_b64 exec, exec, s[2:3]
	s_cbranch_execz .LBB0_15
; %bb.12:
	v_mad_u64_u32 v[2:3], s[0:1], s12, v61, 0
	v_add_u32_e32 v7, 0x222, v61
	v_mov_b32_e32 v6, s15
	v_mad_u64_u32 v[3:4], s[0:1], s13, v61, v[3:4]
	v_mad_u64_u32 v[4:5], s[0:1], s12, v7, 0
	v_add_co_u32_e64 v11, s[0:1], s14, v0
	v_addc_co_u32_e64 v15, s[0:1], v6, v1, s[0:1]
	v_mad_u64_u32 v[5:6], s[0:1], s13, v7, v[5:6]
	v_mad_u64_u32 v[6:7], s[0:1], s12, v62, 0
	v_lshlrev_b64 v[2:3], 3, v[2:3]
	v_add_u32_e32 v65, 0x68, v61
	v_add_co_u32_e64 v16, s[0:1], v11, v2
	v_addc_co_u32_e64 v17, s[0:1], v15, v3, s[0:1]
	v_lshlrev_b64 v[2:3], 3, v[4:5]
	v_mov_b32_e32 v4, v7
	v_mad_u64_u32 v[4:5], s[0:1], s13, v62, v[4:5]
	v_add_u32_e32 v5, 0x256, v61
	v_mad_u64_u32 v[8:9], s[0:1], s12, v5, 0
	v_add_co_u32_e64 v18, s[0:1], v11, v2
	v_mov_b32_e32 v7, v4
	v_mov_b32_e32 v4, v9
	v_addc_co_u32_e64 v19, s[0:1], v15, v3, s[0:1]
	v_mad_u64_u32 v[4:5], s[0:1], s13, v5, v[4:5]
	v_lshlrev_b64 v[2:3], 3, v[6:7]
	v_mad_u64_u32 v[5:6], s[0:1], s12, v65, 0
	v_add_co_u32_e64 v20, s[0:1], v11, v2
	v_mov_b32_e32 v9, v4
	v_mov_b32_e32 v4, v6
	v_addc_co_u32_e64 v21, s[0:1], v15, v3, s[0:1]
	v_lshlrev_b64 v[2:3], 3, v[8:9]
	v_mad_u64_u32 v[6:7], s[0:1], s13, v65, v[4:5]
	v_add_u32_e32 v9, 0x28a, v61
	v_mad_u64_u32 v[7:8], s[0:1], s12, v9, 0
	v_add_co_u32_e64 v22, s[0:1], v11, v2
	v_mov_b32_e32 v4, v8
	v_addc_co_u32_e64 v23, s[0:1], v15, v3, s[0:1]
	v_lshlrev_b64 v[2:3], 3, v[5:6]
	v_mad_u64_u32 v[4:5], s[0:1], s13, v9, v[4:5]
	v_add_u32_e32 v10, 0x9c, v61
	v_mad_u64_u32 v[5:6], s[0:1], s12, v10, 0
	v_add_co_u32_e64 v30, s[0:1], v11, v2
	v_mov_b32_e32 v8, v4
	v_mov_b32_e32 v4, v6
	v_addc_co_u32_e64 v31, s[0:1], v15, v3, s[0:1]
	v_lshlrev_b64 v[2:3], 3, v[7:8]
	v_mad_u64_u32 v[6:7], s[0:1], s13, v10, v[4:5]
	v_add_u32_e32 v9, 0x2be, v61
	v_mad_u64_u32 v[7:8], s[0:1], s12, v9, 0
	v_add_co_u32_e64 v46, s[0:1], v11, v2
	v_mov_b32_e32 v4, v8
	v_addc_co_u32_e64 v47, s[0:1], v15, v3, s[0:1]
	v_lshlrev_b64 v[2:3], 3, v[5:6]
	v_mad_u64_u32 v[4:5], s[0:1], s13, v9, v[4:5]
	v_add_u32_e32 v14, 0xd0, v61
	;; [unrolled: 15-line block ×7, first 2 shown]
	v_mad_u64_u32 v[5:6], s[0:1], s12, v74, 0
	v_add_co_u32_e64 v77, s[0:1], v11, v2
	v_mov_b32_e32 v8, v4
	v_mov_b32_e32 v4, v6
	v_addc_co_u32_e64 v78, s[0:1], v15, v3, s[0:1]
	v_lshlrev_b64 v[2:3], 3, v[7:8]
	v_mad_u64_u32 v[6:7], s[0:1], s13, v74, v[4:5]
	v_add_u32_e32 v9, 0x3f6, v61
	v_mad_u64_u32 v[7:8], s[0:1], s12, v9, 0
	v_add_co_u32_e64 v79, s[0:1], v11, v2
	v_mov_b32_e32 v4, v8
	v_addc_co_u32_e64 v80, s[0:1], v15, v3, s[0:1]
	v_lshlrev_b64 v[2:3], 3, v[5:6]
	v_mad_u64_u32 v[4:5], s[0:1], s13, v9, v[4:5]
	v_add_co_u32_e64 v81, s[0:1], v11, v2
	v_mov_b32_e32 v8, v4
	v_addc_co_u32_e64 v82, s[0:1], v15, v3, s[0:1]
	v_lshlrev_b64 v[2:3], 3, v[7:8]
	v_add_co_u32_e64 v83, s[0:1], v11, v2
	v_addc_co_u32_e64 v84, s[0:1], v15, v3, s[0:1]
	global_load_dwordx2 v[2:3], v[16:17], off
	global_load_dwordx2 v[4:5], v[18:19], off
	;; [unrolled: 1-line block ×15, first 2 shown]
                                        ; kill: killed $vgpr48 killed $vgpr49
                                        ; kill: killed $vgpr70 killed $vgpr71
                                        ; kill: killed $vgpr22 killed $vgpr23
                                        ; kill: killed $vgpr63 killed $vgpr64
                                        ; kill: killed $vgpr30 killed $vgpr31
                                        ; kill: killed $vgpr66 killed $vgpr67
                                        ; kill: killed $vgpr18 killed $vgpr19
                                        ; kill: killed $vgpr54 killed $vgpr55
                                        ; kill: killed $vgpr20 killed $vgpr21
                                        ; kill: killed $vgpr56 killed $vgpr57
                                        ; kill: killed $vgpr50 killed $vgpr51
                                        ; kill: killed $vgpr16 killed $vgpr17
                                        ; kill: killed $vgpr52 killed $vgpr53
                                        ; kill: killed $vgpr46 killed $vgpr47
                                        ; kill: killed $vgpr68 killed $vgpr69
	global_load_dwordx2 v[48:49], v[75:76], off
	global_load_dwordx2 v[46:47], v[77:78], off
	;; [unrolled: 1-line block ×5, first 2 shown]
	v_cmp_gt_u32_e64 s[0:1], 26, v61
	v_mov_b32_e32 v30, 0
	v_mov_b32_e32 v31, 0
                                        ; implicit-def: $vgpr56
	s_and_saveexec_b64 s[4:5], s[0:1]
	s_cbranch_execz .LBB0_14
; %bb.13:
	v_add_u32_e32 v20, 0x208, v61
	v_add_u32_e32 v22, 0x42a, v61
	v_mad_u64_u32 v[16:17], s[0:1], s12, v20, 0
	v_mad_u64_u32 v[18:19], s[0:1], s12, v22, 0
	;; [unrolled: 1-line block ×3, first 2 shown]
	v_mov_b32_e32 v17, v20
	v_mad_u64_u32 v[19:20], s[0:1], s13, v22, v[19:20]
	v_lshlrev_b64 v[16:17], 3, v[16:17]
	v_add_co_u32_e64 v16, s[0:1], v11, v16
	v_lshlrev_b64 v[18:19], 3, v[18:19]
	v_addc_co_u32_e64 v17, s[0:1], v15, v17, s[0:1]
	v_add_co_u32_e64 v18, s[0:1], v11, v18
	v_addc_co_u32_e64 v19, s[0:1], v15, v19, s[0:1]
	global_load_dwordx2 v[30:31], v[16:17], off
	global_load_dwordx2 v[56:57], v[18:19], off
.LBB0_14:
	s_or_b64 exec, exec, s[4:5]
	v_mov_b32_e32 v72, v62
.LBB0_15:
	s_or_b64 exec, exec, s[2:3]
	s_waitcnt vmcnt(18)
	v_sub_f32_e32 v16, v2, v4
	v_fma_f32 v15, v2, 2.0, -v16
	v_lshl_add_u32 v2, v61, 3, 0
	ds_write_b64 v2, v[15:16]
	s_waitcnt vmcnt(14)
	v_sub_f32_e32 v16, v12, v24
	v_sub_f32_e32 v18, v6, v8
	v_fma_f32 v15, v12, 2.0, -v16
	s_waitcnt vmcnt(12)
	v_sub_f32_e32 v12, v26, v28
	v_fma_f32 v17, v6, 2.0, -v18
	v_lshl_add_u32 v6, v72, 3, 0
	v_lshl_add_u32 v4, v65, 3, 0
	v_fma_f32 v11, v26, 2.0, -v12
	v_lshl_add_u32 v26, v10, 3, 0
	ds_write_b64 v6, v[17:18]
	ds_write_b64 v4, v[15:16]
	;; [unrolled: 1-line block ×3, first 2 shown]
	s_waitcnt vmcnt(10)
	v_sub_f32_e32 v12, v32, v36
	v_fma_f32 v11, v32, 2.0, -v12
	v_lshl_add_u32 v66, v14, 3, 0
	ds_write_b64 v66, v[11:12]
	s_waitcnt vmcnt(8)
	v_sub_f32_e32 v12, v34, v40
	v_fma_f32 v11, v34, 2.0, -v12
	v_lshl_add_u32 v34, v59, 3, 0
	ds_write_b64 v34, v[11:12]
	;; [unrolled: 5-line block ×6, first 2 shown]
	v_sub_f32_e32 v12, v30, v56
	v_add_u32_e32 v63, 0x208, v61
	v_fma_f32 v11, v30, 2.0, -v12
	v_cmp_gt_u32_e64 s[2:3], 26, v61
	v_lshl_add_u32 v8, v63, 3, 0
	s_and_saveexec_b64 s[0:1], s[2:3]
	s_cbranch_execz .LBB0_17
; %bb.16:
	ds_write_b64 v8, v[11:12]
.LBB0_17:
	s_or_b64 exec, exec, s[0:1]
	v_lshl_add_u32 v64, v61, 2, 0
	v_add_u32_e32 v17, 0x800, v64
	v_lshlrev_b32_e32 v28, 2, v65
	v_lshlrev_b32_e32 v30, 2, v10
	;; [unrolled: 1-line block ×3, first 2 shown]
	v_add_u32_e32 v19, 0xa00, v64
	v_lshlrev_b32_e32 v46, 2, v59
	v_lshlrev_b32_e32 v69, 2, v58
	v_add_u32_e32 v70, 0xc00, v64
	v_lshlrev_b32_e32 v75, 2, v60
	s_waitcnt lgkmcnt(0)
	; wave barrier
	s_waitcnt lgkmcnt(0)
	ds_read2_b32 v[15:16], v17 offset0:34 offset1:86
	v_lshl_add_u32 v67, v72, 2, 0
	v_sub_u32_e32 v23, v4, v28
	ds_read2_b32 v[17:18], v17 offset0:138 offset1:190
	v_sub_u32_e32 v24, v26, v30
	v_sub_u32_e32 v42, v66, v40
	ds_read2_b32 v[19:20], v19 offset0:114 offset1:166
	v_sub_u32_e32 v44, v34, v46
	;; [unrolled: 3-line block ×3, first 2 shown]
	ds_read_b32 v85, v64
	ds_read_b32 v32, v67
	;; [unrolled: 1-line block ×8, first 2 shown]
	v_lshlrev_b32_e32 v76, 2, v73
	v_sub_u32_e32 v42, v38, v76
	v_lshlrev_b32_e32 v77, 2, v74
	ds_read2_b32 v[23:24], v70 offset0:194 offset1:246
	v_sub_u32_e32 v44, v54, v77
	ds_read_b32 v88, v42
	ds_read_b32 v89, v44
	s_and_saveexec_b64 s[0:1], s[2:3]
	s_cbranch_execz .LBB0_19
; %bb.18:
	ds_read_b32 v11, v64 offset:2080
	ds_read_b32 v12, v64 offset:4264
.LBB0_19:
	s_or_b64 exec, exec, s[0:1]
	v_sub_u32_e32 v42, 0, v28
	v_sub_u32_e32 v68, 0, v30
	;; [unrolled: 1-line block ×3, first 2 shown]
	v_sub_f32_e32 v77, v3, v5
	v_sub_f32_e32 v91, v27, v29
	;; [unrolled: 1-line block ×3, first 2 shown]
	v_sub_u32_e32 v44, 0, v40
	v_sub_u32_e32 v70, 0, v46
	;; [unrolled: 1-line block ×5, first 2 shown]
	v_fma_f32 v76, v3, 2.0, -v77
	v_sub_f32_e32 v80, v7, v9
	v_sub_f32_e32 v83, v13, v25
	v_fma_f32 v90, v27, 2.0, -v91
	v_sub_f32_e32 v93, v33, v37
	v_sub_f32_e32 v41, v35, v41
	v_sub_f32_e32 v95, v39, v45
	v_sub_f32_e32 v97, v43, v49
	v_sub_f32_e32 v99, v47, v53
	v_sub_f32_e32 v101, v51, v55
	v_fma_f32 v27, v31, 2.0, -v28
	v_fma_f32 v79, v7, 2.0, -v80
	;; [unrolled: 1-line block ×9, first 2 shown]
	s_waitcnt lgkmcnt(0)
	; wave barrier
	s_waitcnt lgkmcnt(0)
	ds_write_b64 v2, v[76:77]
	ds_write_b64 v6, v[79:80]
	;; [unrolled: 1-line block ×10, first 2 shown]
	s_and_saveexec_b64 s[0:1], s[2:3]
	s_cbranch_execz .LBB0_21
; %bb.20:
	ds_write_b64 v8, v[27:28]
.LBB0_21:
	s_or_b64 exec, exec, s[0:1]
	v_add_u32_e32 v7, v4, v42
	v_add_u32_e32 v4, 0xa00, v64
	s_waitcnt lgkmcnt(0)
	; wave barrier
	s_waitcnt lgkmcnt(0)
	v_add_u32_e32 v5, 0x800, v64
	v_add_u32_e32 v69, v66, v44
	ds_read2_b32 v[43:44], v4 offset0:114 offset1:166
	v_add_u32_e32 v4, 0xc00, v64
	ds_read2_b32 v[39:40], v5 offset0:34 offset1:86
	ds_read2_b32 v[41:42], v5 offset0:138 offset1:190
	v_add_u32_e32 v68, v26, v68
	v_add_u32_e32 v70, v34, v70
	;; [unrolled: 1-line block ×3, first 2 shown]
	ds_read2_b32 v[45:46], v4 offset0:90 offset1:142
	v_add_u32_e32 v66, v48, v75
	ds_read_b32 v86, v64
	ds_read_b32 v84, v67
	;; [unrolled: 1-line block ×8, first 2 shown]
	v_add_u32_e32 v13, v38, v78
	ds_read2_b32 v[47:48], v4 offset0:194 offset1:246
	v_add_u32_e32 v5, v54, v30
	ds_read_b32 v80, v13
	ds_read_b32 v78, v5
	v_lshlrev_b32_e32 v2, 1, v61
	v_lshlrev_b32_e32 v3, 1, v72
	;; [unrolled: 1-line block ×10, first 2 shown]
	s_and_saveexec_b64 s[0:1], s[2:3]
	s_cbranch_execz .LBB0_23
; %bb.22:
	ds_read_b32 v27, v64 offset:2080
	ds_read_b32 v28, v64 offset:4264
.LBB0_23:
	s_or_b64 exec, exec, s[0:1]
	v_and_b32_e32 v74, 1, v61
	v_lshlrev_b32_e32 v26, 3, v74
	global_load_dwordx2 v[53:54], v26, s[8:9]
	s_movk_i32 s0, 0x7c
	s_movk_i32 s4, 0x1fc
	;; [unrolled: 1-line block ×6, first 2 shown]
	v_and_or_b32 v26, v2, s0, v74
	v_and_or_b32 v30, v6, s4, v74
	;; [unrolled: 1-line block ×10, first 2 shown]
	v_lshl_add_u32 v90, v26, 2, 0
	v_lshl_add_u32 v92, v30, 2, 0
	;; [unrolled: 1-line block ×10, first 2 shown]
	s_waitcnt lgkmcnt(0)
	; wave barrier
	s_waitcnt vmcnt(0) lgkmcnt(0)
	v_mul_f32_e32 v13, v39, v54
	v_mul_f32_e32 v26, v42, v54
	;; [unrolled: 1-line block ×11, first 2 shown]
	v_fmac_f32_e32 v13, v15, v53
	v_fmac_f32_e32 v26, v18, v53
	;; [unrolled: 1-line block ×11, first 2 shown]
	v_sub_f32_e32 v13, v85, v13
	v_sub_f32_e32 v51, v50, v26
	v_sub_f32_e32 v57, v56, v30
	v_sub_f32_e32 v38, v87, v33
	v_sub_f32_e32 v34, v88, v34
	v_sub_f32_e32 v30, v89, v35
	v_sub_f32_e32 v26, v11, v37
	v_sub_f32_e32 v14, v32, v14
	v_sub_f32_e32 v49, v36, v25
	v_sub_f32_e32 v55, v52, v29
	v_sub_f32_e32 v73, v81, v31
	v_fma_f32 v31, v85, 2.0, -v13
	v_fma_f32 v37, v87, 2.0, -v38
	;; [unrolled: 1-line block ×5, first 2 shown]
	v_lshlrev_b32_e32 v11, 1, v63
	v_fma_f32 v32, v32, 2.0, -v14
	v_fma_f32 v35, v36, 2.0, -v49
	;; [unrolled: 1-line block ×6, first 2 shown]
	ds_write2_b32 v90, v31, v13 offset1:2
	ds_write2_b32 v91, v32, v14 offset1:2
	;; [unrolled: 1-line block ×10, first 2 shown]
	s_and_saveexec_b64 s[0:1], s[2:3]
	s_cbranch_execz .LBB0_25
; %bb.24:
	s_movk_i32 s4, 0x47c
	v_and_or_b32 v13, v11, s4, v74
	v_lshl_add_u32 v13, v13, 2, 0
	ds_write2_b32 v13, v25, v26 offset1:2
.LBB0_25:
	s_or_b64 exec, exec, s[0:1]
	v_add_u32_e32 v85, 0x400, v64
	v_add_u32_e32 v81, 0x600, v64
	;; [unrolled: 1-line block ×4, first 2 shown]
	s_waitcnt lgkmcnt(0)
	; wave barrier
	s_waitcnt lgkmcnt(0)
	ds_read2_b32 v[13:14], v64 offset1:84
	ds_read2_b32 v[59:60], v64 offset0:168 offset1:252
	ds_read2_b32 v[57:58], v85 offset0:80 offset1:164
	;; [unrolled: 1-line block ×5, first 2 shown]
	ds_read_b32 v88, v64 offset:4032
	v_cmp_gt_u32_e64 s[0:1], 32, v61
                                        ; implicit-def: $vgpr32
                                        ; implicit-def: $vgpr36
	s_and_saveexec_b64 s[4:5], s[0:1]
	s_cbranch_execz .LBB0_27
; %bb.26:
	ds_read_b32 v73, v67
	ds_read2_b32 v[37:38], v64 offset0:136 offset1:220
	ds_read2_b32 v[33:34], v85 offset0:48 offset1:132
	;; [unrolled: 1-line block ×5, first 2 shown]
	v_add_u32_e32 v31, 0xe00, v64
	ds_read2_b32 v[31:32], v31 offset0:80 offset1:164
.LBB0_27:
	s_or_b64 exec, exec, s[4:5]
	v_mul_f32_e32 v15, v15, v54
	v_mul_f32_e32 v16, v16, v54
	;; [unrolled: 1-line block ×8, first 2 shown]
	v_fma_f32 v15, v39, v53, -v15
	v_fma_f32 v16, v40, v53, -v16
	;; [unrolled: 1-line block ×3, first 2 shown]
	v_mul_f32_e32 v18, v18, v54
	v_mul_f32_e32 v19, v19, v54
	v_fma_f32 v20, v44, v53, -v20
	v_mul_f32_e32 v21, v21, v54
	v_fma_f32 v22, v46, v53, -v22
	v_fma_f32 v23, v47, v53, -v23
	;; [unrolled: 1-line block ×7, first 2 shown]
	v_sub_f32_e32 v28, v86, v15
	v_sub_f32_e32 v43, v84, v16
	;; [unrolled: 1-line block ×7, first 2 shown]
	v_fma_f32 v42, v86, 2.0, -v28
	v_sub_f32_e32 v17, v83, v17
	v_sub_f32_e32 v18, v82, v18
	;; [unrolled: 1-line block ×4, first 2 shown]
	v_fma_f32 v39, v75, 2.0, -v40
	v_fma_f32 v23, v80, 2.0, -v24
	;; [unrolled: 1-line block ×10, first 2 shown]
	s_waitcnt lgkmcnt(0)
	; wave barrier
	s_waitcnt lgkmcnt(0)
	ds_write2_b32 v90, v42, v28 offset1:2
	ds_write2_b32 v91, v44, v43 offset1:2
	;; [unrolled: 1-line block ×10, first 2 shown]
	s_and_saveexec_b64 s[4:5], s[2:3]
	s_cbranch_execz .LBB0_29
; %bb.28:
	s_movk_i32 s2, 0x47c
	v_and_or_b32 v11, v11, s2, v74
	v_lshl_add_u32 v11, v11, 2, 0
	ds_write2_b32 v11, v15, v16 offset1:2
.LBB0_29:
	s_or_b64 exec, exec, s[4:5]
	v_add_u32_e32 v74, 0x400, v64
	v_add_u32_e32 v53, 0x600, v64
	;; [unrolled: 1-line block ×4, first 2 shown]
	s_waitcnt lgkmcnt(0)
	; wave barrier
	s_waitcnt lgkmcnt(0)
	ds_read2_b32 v[11:12], v64 offset1:84
	ds_read2_b32 v[47:48], v64 offset0:168 offset1:252
	ds_read2_b32 v[45:46], v74 offset0:80 offset1:164
	;; [unrolled: 1-line block ×5, first 2 shown]
	ds_read_b32 v75, v64 offset:4032
                                        ; implicit-def: $vgpr18
                                        ; implicit-def: $vgpr22
	s_and_saveexec_b64 s[2:3], s[0:1]
	s_cbranch_execz .LBB0_31
; %bb.30:
	ds_read_b32 v54, v67
	ds_read2_b32 v[39:40], v64 offset0:136 offset1:220
	ds_read2_b32 v[23:24], v74 offset0:48 offset1:132
	;; [unrolled: 1-line block ×5, first 2 shown]
	v_add_u32_e32 v17, 0xe00, v64
	ds_read2_b32 v[17:18], v17 offset0:80 offset1:164
.LBB0_31:
	s_or_b64 exec, exec, s[2:3]
	v_and_b32_e32 v53, 3, v61
	v_mul_u32_u24_e32 v74, 12, v53
	v_lshlrev_b32_e32 v79, 3, v74
	global_load_dwordx4 v[89:92], v79, s[8:9] offset:64
	global_load_dwordx4 v[93:96], v79, s[8:9] offset:48
	;; [unrolled: 1-line block ×6, first 2 shown]
	s_mov_b32 s4, 0x3f62ad3f
	s_mov_b32 s5, 0x3f116cb1
	;; [unrolled: 1-line block ×6, first 2 shown]
	s_waitcnt lgkmcnt(0)
	; wave barrier
	s_waitcnt vmcnt(3) lgkmcnt(0)
	v_mul_f32_e32 v74, v48, v98
	s_waitcnt vmcnt(2)
	v_mul_f32_e32 v81, v12, v102
	v_fmac_f32_e32 v81, v14, v101
	v_mul_f32_e32 v14, v14, v102
	v_fma_f32 v82, v12, v101, -v14
	v_mul_f32_e32 v12, v59, v104
	v_mul_f32_e32 v77, v47, v104
	v_fma_f32 v78, v47, v103, -v12
	v_mul_f32_e32 v12, v60, v98
	v_fmac_f32_e32 v77, v59, v103
	v_fma_f32 v76, v48, v97, -v12
	v_mul_f32_e32 v59, v45, v100
	v_mul_f32_e32 v12, v57, v100
	v_fmac_f32_e32 v74, v60, v97
	v_fmac_f32_e32 v59, v57, v99
	v_fma_f32 v60, v45, v99, -v12
	v_mul_f32_e32 v57, v46, v94
	v_mul_f32_e32 v12, v58, v94
	;; [unrolled: 1-line block ×3, first 2 shown]
	v_fmac_f32_e32 v57, v58, v93
	v_fma_f32 v58, v46, v93, -v12
	v_mul_f32_e32 v12, v43, v96
	v_fma_f32 v14, v43, v95, -v14
	v_mul_f32_e32 v43, v56, v90
	v_fmac_f32_e32 v12, v55, v95
	v_fma_f32 v47, v44, v89, -v43
	v_mul_f32_e32 v55, v41, v92
	v_mul_f32_e32 v43, v51, v92
	v_fmac_f32_e32 v55, v51, v91
	v_fma_f32 v51, v41, v91, -v43
	s_waitcnt vmcnt(0)
	v_mul_f32_e32 v41, v52, v110
	v_fma_f32 v80, v42, v109, -v41
	v_mul_f32_e32 v41, v49, v112
	v_mul_f32_e32 v83, v27, v112
	v_fma_f32 v84, v27, v111, -v41
	v_mul_f32_e32 v27, v50, v106
	v_fma_f32 v86, v28, v105, -v27
	v_mul_f32_e32 v87, v75, v108
	v_mul_f32_e32 v27, v88, v108
	v_fmac_f32_e32 v87, v88, v107
	v_fma_f32 v88, v75, v107, -v27
	v_mul_f32_e32 v27, v37, v102
	v_fmac_f32_e32 v83, v49, v111
	v_fma_f32 v49, v39, v101, -v27
	v_mul_f32_e32 v27, v38, v104
	v_fma_f32 v45, v40, v103, -v27
	v_mul_f32_e32 v27, v33, v98
	v_mul_f32_e32 v46, v44, v90
	v_mul_f32_e32 v79, v42, v110
	v_mul_f32_e32 v48, v39, v102
	v_mul_f32_e32 v44, v40, v104
	v_mul_f32_e32 v41, v23, v98
	v_fma_f32 v42, v23, v97, -v27
	v_mul_f32_e32 v23, v34, v100
	v_fmac_f32_e32 v48, v37, v101
	v_fmac_f32_e32 v44, v38, v103
	v_mul_f32_e32 v37, v24, v100
	v_fma_f32 v38, v24, v99, -v23
	v_mul_f32_e32 v23, v29, v94
	v_fmac_f32_e32 v41, v33, v97
	v_fmac_f32_e32 v37, v34, v99
	v_mul_f32_e32 v33, v19, v94
	v_fma_f32 v34, v19, v93, -v23
	v_mul_f32_e32 v19, v30, v96
	v_mul_f32_e32 v85, v28, v106
	;; [unrolled: 1-line block ×3, first 2 shown]
	v_fma_f32 v28, v20, v95, -v19
	v_mul_f32_e32 v19, v25, v90
	v_fmac_f32_e32 v33, v29, v93
	v_fmac_f32_e32 v27, v30, v95
	v_mul_f32_e32 v29, v15, v90
	v_fma_f32 v30, v15, v89, -v19
	v_mul_f32_e32 v15, v26, v92
	v_fma_f32 v40, v16, v91, -v15
	v_mul_f32_e32 v43, v21, v110
	v_mul_f32_e32 v15, v35, v110
	v_fmac_f32_e32 v85, v50, v105
	v_fmac_f32_e32 v43, v35, v109
	v_fma_f32 v35, v21, v109, -v15
	v_mul_f32_e32 v50, v22, v112
	v_mul_f32_e32 v15, v36, v112
	v_fmac_f32_e32 v79, v52, v109
	v_fmac_f32_e32 v50, v36, v111
	v_fma_f32 v36, v22, v111, -v15
	v_mul_f32_e32 v52, v17, v106
	v_mul_f32_e32 v15, v31, v106
	;; [unrolled: 1-line block ×3, first 2 shown]
	v_fmac_f32_e32 v52, v31, v105
	v_fma_f32 v31, v17, v105, -v15
	v_mul_f32_e32 v15, v32, v108
	v_sub_f32_e32 v17, v82, v88
	v_fmac_f32_e32 v46, v56, v89
	v_fmac_f32_e32 v39, v26, v91
	v_mul_f32_e32 v56, v18, v108
	v_fma_f32 v75, v18, v107, -v15
	v_mul_f32_e32 v18, 0xbeedf032, v17
	v_mul_f32_e32 v20, 0xbf52af12, v17
	;; [unrolled: 1-line block ×6, first 2 shown]
	v_fmac_f32_e32 v29, v25, v89
	v_fmac_f32_e32 v56, v32, v107
	v_add_f32_e32 v16, v81, v87
	v_mov_b32_e32 v19, v18
	v_mov_b32_e32 v21, v20
	;; [unrolled: 1-line block ×6, first 2 shown]
	v_fmac_f32_e32 v19, 0x3f62ad3f, v16
	v_fma_f32 v18, v16, s4, -v18
	v_fmac_f32_e32 v21, 0x3f116cb1, v16
	v_fma_f32 v20, v16, s5, -v20
	;; [unrolled: 2-line block ×6, first 2 shown]
	v_sub_f32_e32 v17, v78, v86
	v_add_f32_e32 v15, v13, v81
	v_add_f32_e32 v19, v13, v19
	;; [unrolled: 1-line block ×14, first 2 shown]
	v_mul_f32_e32 v90, 0xbf52af12, v17
	v_mov_b32_e32 v91, v90
	v_fma_f32 v90, v16, s5, -v90
	v_fmac_f32_e32 v91, 0x3f116cb1, v16
	v_add_f32_e32 v18, v90, v18
	v_mul_f32_e32 v90, 0xbf6f5d39, v17
	v_add_f32_e32 v19, v91, v19
	v_mov_b32_e32 v91, v90
	v_fma_f32 v90, v16, s7, -v90
	v_fmac_f32_e32 v91, 0xbeb58ec6, v16
	v_add_f32_e32 v20, v90, v20
	v_mul_f32_e32 v90, 0xbe750f2a, v17
	v_add_f32_e32 v21, v91, v21
	v_mov_b32_e32 v91, v90
	v_fma_f32 v90, v16, s11, -v90
	v_fmac_f32_e32 v91, 0xbf788fa5, v16
	v_add_f32_e32 v22, v90, v22
	v_mul_f32_e32 v90, 0x3f29c268, v17
	v_add_f32_e32 v23, v91, v23
	v_mov_b32_e32 v91, v90
	v_fma_f32 v90, v16, s10, -v90
	v_fmac_f32_e32 v91, 0xbf3f9e67, v16
	v_add_f32_e32 v24, v90, v24
	v_mul_f32_e32 v90, 0x3f7e222b, v17
	v_add_f32_e32 v25, v91, v25
	v_mov_b32_e32 v91, v90
	v_fma_f32 v90, v16, s6, -v90
	v_mul_f32_e32 v17, 0x3eedf032, v17
	v_add_f32_e32 v26, v90, v26
	v_mov_b32_e32 v90, v17
	v_fmac_f32_e32 v91, 0x3df6dbef, v16
	v_fmac_f32_e32 v90, 0x3f62ad3f, v16
	v_fma_f32 v16, v16, s4, -v17
	v_sub_f32_e32 v17, v76, v84
	v_add_f32_e32 v89, v90, v89
	v_add_f32_e32 v13, v16, v13
	v_add_f32_e32 v16, v74, v83
	v_mul_f32_e32 v90, 0xbf7e222b, v17
	v_add_f32_e32 v32, v91, v32
	v_mov_b32_e32 v91, v90
	v_fma_f32 v90, v16, s6, -v90
	v_fmac_f32_e32 v91, 0x3df6dbef, v16
	v_add_f32_e32 v18, v90, v18
	v_mul_f32_e32 v90, 0xbe750f2a, v17
	v_add_f32_e32 v19, v91, v19
	v_mov_b32_e32 v91, v90
	v_fma_f32 v90, v16, s11, -v90
	v_fmac_f32_e32 v91, 0xbf788fa5, v16
	v_add_f32_e32 v20, v90, v20
	v_mul_f32_e32 v90, 0x3f6f5d39, v17
	v_add_f32_e32 v21, v91, v21
	v_mov_b32_e32 v91, v90
	v_fma_f32 v90, v16, s7, -v90
	v_fmac_f32_e32 v91, 0xbeb58ec6, v16
	v_add_f32_e32 v22, v90, v22
	v_mul_f32_e32 v90, 0x3eedf032, v17
	v_add_f32_e32 v23, v91, v23
	v_mov_b32_e32 v91, v90
	v_fma_f32 v90, v16, s4, -v90
	v_fmac_f32_e32 v91, 0x3f62ad3f, v16
	v_add_f32_e32 v24, v90, v24
	v_mul_f32_e32 v90, 0xbf52af12, v17
	v_add_f32_e32 v25, v91, v25
	v_mov_b32_e32 v91, v90
	v_fma_f32 v90, v16, s5, -v90
	v_mul_f32_e32 v17, 0xbf29c268, v17
	v_add_f32_e32 v26, v90, v26
	v_mov_b32_e32 v90, v17
	v_fmac_f32_e32 v91, 0x3f116cb1, v16
	v_fmac_f32_e32 v90, 0xbf3f9e67, v16
	v_fma_f32 v16, v16, s10, -v17
	v_sub_f32_e32 v17, v60, v80
	v_add_f32_e32 v89, v90, v89
	v_add_f32_e32 v13, v16, v13
	v_add_f32_e32 v16, v59, v79
	v_mul_f32_e32 v90, 0xbf6f5d39, v17
	v_add_f32_e32 v32, v91, v32
	;; [unrolled: 38-line block ×4, first 2 shown]
	v_mov_b32_e32 v91, v90
	v_fma_f32 v90, v16, s11, -v90
	v_fmac_f32_e32 v91, 0xbf788fa5, v16
	v_add_f32_e32 v18, v90, v18
	v_mul_f32_e32 v90, 0x3eedf032, v17
	v_add_f32_e32 v19, v91, v19
	v_mov_b32_e32 v91, v90
	v_fma_f32 v90, v16, s4, -v90
	v_fmac_f32_e32 v91, 0x3f62ad3f, v16
	v_add_f32_e32 v20, v90, v20
	v_mul_f32_e32 v90, 0xbf29c268, v17
	v_add_f32_e32 v15, v15, v77
	v_add_f32_e32 v21, v91, v21
	v_mov_b32_e32 v91, v90
	v_fma_f32 v90, v16, s10, -v90
	v_add_f32_e32 v15, v15, v74
	v_fmac_f32_e32 v91, 0xbf3f9e67, v16
	v_add_f32_e32 v22, v90, v22
	v_mul_f32_e32 v90, 0x3f52af12, v17
	v_add_f32_e32 v15, v15, v59
	v_add_f32_e32 v23, v91, v23
	v_mov_b32_e32 v91, v90
	v_fma_f32 v90, v16, s5, -v90
	v_add_f32_e32 v15, v15, v57
	v_fmac_f32_e32 v91, 0x3f116cb1, v16
	v_add_f32_e32 v24, v90, v24
	v_mul_f32_e32 v90, 0xbf6f5d39, v17
	v_add_f32_e32 v15, v15, v12
	v_add_f32_e32 v25, v91, v25
	v_mov_b32_e32 v91, v90
	v_fma_f32 v90, v16, s7, -v90
	v_mul_f32_e32 v17, 0x3f7e222b, v17
	v_add_f32_e32 v15, v15, v46
	v_add_f32_e32 v26, v90, v26
	v_mov_b32_e32 v90, v17
	v_add_f32_e32 v15, v15, v55
	v_fmac_f32_e32 v91, 0xbeb58ec6, v16
	v_fmac_f32_e32 v90, 0x3df6dbef, v16
	v_fma_f32 v16, v16, s6, -v17
	v_add_f32_e32 v15, v15, v79
	v_add_f32_e32 v13, v16, v13
	v_lshrrev_b32_e32 v16, 2, v61
	v_add_f32_e32 v15, v15, v83
	v_mul_u32_u24_e32 v16, 52, v16
	v_add_f32_e32 v15, v15, v85
	v_or_b32_e32 v16, v16, v53
	v_add_f32_e32 v15, v15, v87
	v_add_f32_e32 v32, v91, v32
	;; [unrolled: 1-line block ×3, first 2 shown]
	v_lshl_add_u32 v89, v16, 2, 0
	ds_write2_b32 v89, v15, v19 offset1:4
	ds_write2_b32 v89, v21, v23 offset0:8 offset1:12
	ds_write2_b32 v89, v25, v32 offset0:16 offset1:20
	;; [unrolled: 1-line block ×5, first 2 shown]
	ds_write_b32 v89, v18 offset:192
	v_lshrrev_b32_e32 v32, 2, v72
	s_and_saveexec_b64 s[2:3], s[0:1]
	s_cbranch_execz .LBB0_33
; %bb.32:
	v_sub_f32_e32 v15, v49, v75
	v_add_f32_e32 v13, v48, v56
	v_mul_f32_e32 v16, 0xbe750f2a, v15
	v_sub_f32_e32 v19, v45, v31
	v_fma_f32 v17, v13, s11, -v16
	v_add_f32_e32 v18, v44, v52
	v_mul_f32_e32 v20, 0x3eedf032, v19
	v_add_f32_e32 v17, v73, v17
	v_fma_f32 v21, v18, s4, -v20
	v_sub_f32_e32 v22, v42, v36
	v_add_f32_e32 v17, v21, v17
	v_add_f32_e32 v21, v41, v50
	v_mul_f32_e32 v23, 0xbf29c268, v22
	v_fma_f32 v24, v21, s10, -v23
	v_sub_f32_e32 v25, v38, v35
	v_fmac_f32_e32 v16, 0xbf788fa5, v13
	v_add_f32_e32 v17, v24, v17
	v_add_f32_e32 v24, v37, v43
	v_mul_f32_e32 v26, 0x3f52af12, v25
	v_add_f32_e32 v16, v73, v16
	v_fmac_f32_e32 v20, 0x3f62ad3f, v18
	v_fma_f32 v72, v24, s5, -v26
	v_sub_f32_e32 v90, v34, v40
	v_add_f32_e32 v16, v20, v16
	v_fmac_f32_e32 v23, 0xbf3f9e67, v21
	v_add_f32_e32 v17, v72, v17
	v_add_f32_e32 v72, v33, v39
	v_mul_f32_e32 v91, 0xbf6f5d39, v90
	v_add_f32_e32 v16, v23, v16
	v_fmac_f32_e32 v26, 0x3f116cb1, v24
	v_mul_f32_e32 v20, 0xbf29c268, v15
	v_fma_f32 v92, v72, s7, -v91
	v_sub_f32_e32 v93, v28, v30
	v_add_f32_e32 v16, v26, v16
	v_fmac_f32_e32 v91, 0xbeb58ec6, v72
	v_fma_f32 v23, v13, s10, -v20
	v_mul_f32_e32 v26, 0x3f7e222b, v19
	v_add_f32_e32 v17, v92, v17
	v_add_f32_e32 v92, v27, v29
	v_mul_f32_e32 v94, 0x3f7e222b, v93
	v_add_f32_e32 v16, v91, v16
	v_add_f32_e32 v23, v73, v23
	v_fma_f32 v91, v18, s6, -v26
	v_fma_f32 v95, v92, s6, -v94
	v_fmac_f32_e32 v94, 0x3df6dbef, v92
	v_add_f32_e32 v23, v91, v23
	v_mul_f32_e32 v91, 0xbf52af12, v22
	v_add_f32_e32 v16, v94, v16
	v_fma_f32 v94, v21, s5, -v91
	v_fmac_f32_e32 v20, 0xbf3f9e67, v13
	v_add_f32_e32 v23, v94, v23
	v_mul_f32_e32 v94, 0x3e750f2a, v25
	v_add_f32_e32 v20, v73, v20
	v_fmac_f32_e32 v26, 0x3df6dbef, v18
	v_add_f32_e32 v17, v95, v17
	v_fma_f32 v95, v24, s11, -v94
	v_add_f32_e32 v20, v26, v20
	v_fmac_f32_e32 v91, 0x3f116cb1, v21
	v_add_f32_e32 v23, v95, v23
	v_mul_f32_e32 v95, 0x3eedf032, v90
	v_add_f32_e32 v20, v91, v20
	v_fmac_f32_e32 v94, 0xbf788fa5, v24
	v_mul_f32_e32 v26, 0xbf6f5d39, v15
	v_fma_f32 v96, v72, s4, -v95
	v_add_f32_e32 v20, v94, v20
	v_fmac_f32_e32 v95, 0x3f62ad3f, v72
	v_fma_f32 v91, v13, s7, -v26
	v_mul_f32_e32 v94, 0x3f29c268, v19
	v_add_f32_e32 v23, v96, v23
	v_mul_f32_e32 v96, 0xbf6f5d39, v93
	v_add_f32_e32 v20, v95, v20
	v_add_f32_e32 v91, v73, v91
	v_fma_f32 v95, v18, s10, -v94
	v_fma_f32 v97, v92, s7, -v96
	v_fmac_f32_e32 v96, 0xbeb58ec6, v92
	v_add_f32_e32 v91, v95, v91
	v_mul_f32_e32 v95, 0x3eedf032, v22
	v_add_f32_e32 v20, v96, v20
	v_fma_f32 v96, v21, s4, -v95
	v_fmac_f32_e32 v26, 0xbeb58ec6, v13
	v_add_f32_e32 v91, v96, v91
	v_mul_f32_e32 v96, 0xbf7e222b, v25
	v_add_f32_e32 v26, v73, v26
	v_fmac_f32_e32 v94, 0xbf3f9e67, v18
	v_add_f32_e32 v23, v97, v23
	v_fma_f32 v97, v24, s6, -v96
	v_add_f32_e32 v26, v94, v26
	v_fmac_f32_e32 v95, 0x3f62ad3f, v21
	v_add_f32_e32 v91, v97, v91
	v_mul_f32_e32 v97, 0x3e750f2a, v90
	v_add_f32_e32 v26, v95, v26
	v_fmac_f32_e32 v96, 0x3df6dbef, v24
	v_mul_f32_e32 v94, 0xbf7e222b, v15
	v_fma_f32 v98, v72, s11, -v97
	v_add_f32_e32 v26, v96, v26
	v_fmac_f32_e32 v97, 0xbf788fa5, v72
	v_fma_f32 v95, v13, s6, -v94
	v_mul_f32_e32 v96, 0xbe750f2a, v19
	;; [unrolled: 30-line block ×3, first 2 shown]
	v_fmac_f32_e32 v96, 0x3f116cb1, v13
	v_add_f32_e32 v94, v99, v94
	v_fma_f32 v99, v18, s7, -v98
	v_add_f32_e32 v96, v73, v96
	v_fmac_f32_e32 v98, 0xbeb58ec6, v18
	v_mul_f32_e32 v15, 0xbeedf032, v15
	v_add_f32_e32 v96, v98, v96
	v_fma_f32 v98, v13, s4, -v15
	v_fmac_f32_e32 v15, 0x3f62ad3f, v13
	v_add_f32_e32 v13, v73, v15
	v_add_f32_e32 v15, v73, v48
	;; [unrolled: 1-line block ×4, first 2 shown]
	v_mul_f32_e32 v100, 0xbf29c268, v93
	v_add_f32_e32 v97, v73, v97
	v_add_f32_e32 v15, v15, v41
	v_fma_f32 v101, v92, s10, -v100
	v_fmac_f32_e32 v100, 0xbf3f9e67, v92
	v_add_f32_e32 v97, v99, v97
	v_mul_f32_e32 v99, 0xbe750f2a, v22
	v_add_f32_e32 v15, v15, v37
	v_add_f32_e32 v94, v100, v94
	v_fma_f32 v100, v21, s11, -v99
	v_add_f32_e32 v15, v15, v33
	v_add_f32_e32 v97, v100, v97
	v_mul_f32_e32 v100, 0x3f29c268, v25
	v_fmac_f32_e32 v99, 0xbf788fa5, v21
	v_mul_f32_e32 v19, 0xbf52af12, v19
	v_add_f32_e32 v15, v15, v27
	v_add_f32_e32 v95, v101, v95
	v_fma_f32 v101, v24, s10, -v100
	v_add_f32_e32 v96, v99, v96
	v_add_f32_e32 v98, v73, v98
	v_fma_f32 v99, v18, s5, -v19
	v_mul_f32_e32 v22, 0xbf7e222b, v22
	v_fmac_f32_e32 v19, 0x3f116cb1, v18
	v_add_f32_e32 v15, v15, v29
	v_mul_lo_u32 v18, v32, 52
	v_add_f32_e32 v97, v101, v97
	v_mul_f32_e32 v101, 0x3f7e222b, v90
	v_add_f32_e32 v98, v99, v98
	v_fma_f32 v99, v21, s6, -v22
	v_mul_f32_e32 v25, 0xbf6f5d39, v25
	v_add_f32_e32 v13, v19, v13
	v_fmac_f32_e32 v22, 0x3df6dbef, v21
	v_add_f32_e32 v15, v15, v39
	v_fma_f32 v102, v72, s6, -v101
	v_add_f32_e32 v98, v99, v98
	v_fma_f32 v99, v24, s7, -v25
	v_mul_f32_e32 v90, 0xbf29c268, v90
	v_add_f32_e32 v13, v22, v13
	v_fmac_f32_e32 v25, 0xbeb58ec6, v24
	v_add_f32_e32 v15, v15, v43
	v_add_f32_e32 v97, v102, v97
	v_mul_f32_e32 v102, 0x3eedf032, v93
	v_fmac_f32_e32 v100, 0xbf3f9e67, v24
	v_add_f32_e32 v98, v99, v98
	v_fma_f32 v99, v72, s10, -v90
	v_mul_f32_e32 v93, 0xbe750f2a, v93
	v_add_f32_e32 v13, v25, v13
	v_fmac_f32_e32 v90, 0xbf3f9e67, v72
	v_add_f32_e32 v15, v15, v50
	v_add_f32_e32 v96, v100, v96
	v_fmac_f32_e32 v101, 0x3df6dbef, v72
	v_add_f32_e32 v98, v99, v98
	v_fma_f32 v99, v92, s11, -v93
	v_add_f32_e32 v13, v90, v13
	v_fmac_f32_e32 v93, 0xbf788fa5, v92
	v_add_f32_e32 v15, v15, v52
	v_or_b32_e32 v18, v18, v53
	v_fma_f32 v103, v92, s4, -v102
	v_add_f32_e32 v96, v101, v96
	v_fmac_f32_e32 v102, 0x3f62ad3f, v92
	v_add_f32_e32 v13, v93, v13
	v_add_f32_e32 v15, v15, v56
	v_lshl_add_u32 v18, v18, 2, 0
	v_add_f32_e32 v97, v103, v97
	v_add_f32_e32 v96, v102, v96
	;; [unrolled: 1-line block ×3, first 2 shown]
	ds_write2_b32 v18, v15, v13 offset1:4
	ds_write2_b32 v18, v96, v94 offset0:8 offset1:12
	ds_write2_b32 v18, v26, v20 offset0:16 offset1:20
	;; [unrolled: 1-line block ×5, first 2 shown]
	ds_write_b32 v18, v98 offset:192
.LBB0_33:
	s_or_b64 exec, exec, s[2:3]
	v_add_f32_e32 v13, v11, v82
	v_add_f32_e32 v13, v13, v78
	;; [unrolled: 1-line block ×13, first 2 shown]
	v_mul_f32_e32 v16, 0x3f62ad3f, v13
	v_mul_f32_e32 v18, 0x3f116cb1, v13
	;; [unrolled: 1-line block ×6, first 2 shown]
	v_sub_f32_e32 v15, v81, v87
	v_mov_b32_e32 v17, v16
	v_mov_b32_e32 v19, v18
	;; [unrolled: 1-line block ×6, first 2 shown]
	v_fmac_f32_e32 v17, 0x3eedf032, v15
	v_fmac_f32_e32 v16, 0xbeedf032, v15
	;; [unrolled: 1-line block ×12, first 2 shown]
	v_add_f32_e32 v17, v11, v17
	v_add_f32_e32 v16, v11, v16
	;; [unrolled: 1-line block ×13, first 2 shown]
	v_sub_f32_e32 v15, v77, v85
	v_mul_f32_e32 v72, 0x3f116cb1, v13
	v_mov_b32_e32 v73, v72
	v_fmac_f32_e32 v72, 0xbf52af12, v15
	v_fmac_f32_e32 v73, 0x3f52af12, v15
	v_add_f32_e32 v16, v72, v16
	v_mul_f32_e32 v72, 0xbeb58ec6, v13
	v_add_f32_e32 v17, v73, v17
	v_mov_b32_e32 v73, v72
	v_fmac_f32_e32 v72, 0xbf6f5d39, v15
	v_fmac_f32_e32 v73, 0x3f6f5d39, v15
	v_add_f32_e32 v18, v72, v18
	v_mul_f32_e32 v72, 0xbf788fa5, v13
	v_add_f32_e32 v19, v73, v19
	;; [unrolled: 6-line block ×4, first 2 shown]
	v_mov_b32_e32 v73, v72
	v_fmac_f32_e32 v72, 0x3f7e222b, v15
	v_mul_f32_e32 v13, 0x3f62ad3f, v13
	v_add_f32_e32 v24, v72, v24
	v_mov_b32_e32 v72, v13
	v_fmac_f32_e32 v13, 0x3eedf032, v15
	v_fmac_f32_e32 v72, 0xbeedf032, v15
	v_add_f32_e32 v11, v13, v11
	v_add_f32_e32 v13, v76, v84
	v_fmac_f32_e32 v73, 0xbf7e222b, v15
	v_add_f32_e32 v26, v72, v26
	v_sub_f32_e32 v15, v74, v83
	v_mul_f32_e32 v72, 0x3df6dbef, v13
	v_add_f32_e32 v25, v73, v25
	v_mov_b32_e32 v73, v72
	v_fmac_f32_e32 v72, 0xbf7e222b, v15
	v_fmac_f32_e32 v73, 0x3f7e222b, v15
	v_add_f32_e32 v16, v72, v16
	v_mul_f32_e32 v72, 0xbf788fa5, v13
	v_add_f32_e32 v17, v73, v17
	v_mov_b32_e32 v73, v72
	v_fmac_f32_e32 v72, 0xbe750f2a, v15
	v_fmac_f32_e32 v73, 0x3e750f2a, v15
	v_add_f32_e32 v18, v72, v18
	;; [unrolled: 6-line block ×4, first 2 shown]
	v_mul_f32_e32 v72, 0x3f116cb1, v13
	v_add_f32_e32 v23, v73, v23
	v_mov_b32_e32 v73, v72
	v_fmac_f32_e32 v72, 0xbf52af12, v15
	v_mul_f32_e32 v13, 0xbf3f9e67, v13
	v_add_f32_e32 v24, v72, v24
	v_mov_b32_e32 v72, v13
	v_fmac_f32_e32 v13, 0xbf29c268, v15
	v_add_f32_e32 v11, v13, v11
	v_add_f32_e32 v13, v60, v80
	v_fmac_f32_e32 v73, 0x3f52af12, v15
	v_fmac_f32_e32 v72, 0x3f29c268, v15
	v_sub_f32_e32 v15, v59, v79
	v_mul_f32_e32 v59, 0xbeb58ec6, v13
	v_mov_b32_e32 v60, v59
	v_fmac_f32_e32 v59, 0xbf6f5d39, v15
	v_fmac_f32_e32 v60, 0x3f6f5d39, v15
	v_add_f32_e32 v16, v59, v16
	v_mul_f32_e32 v59, 0xbf3f9e67, v13
	v_add_f32_e32 v17, v60, v17
	v_mov_b32_e32 v60, v59
	v_fmac_f32_e32 v59, 0x3f29c268, v15
	v_fmac_f32_e32 v60, 0xbf29c268, v15
	v_add_f32_e32 v18, v59, v18
	v_mul_f32_e32 v59, 0x3f62ad3f, v13
	v_add_f32_e32 v19, v60, v19
	;; [unrolled: 6-line block ×4, first 2 shown]
	v_mov_b32_e32 v60, v59
	v_fmac_f32_e32 v59, 0x3e750f2a, v15
	v_mul_f32_e32 v13, 0x3f116cb1, v13
	v_add_f32_e32 v24, v59, v24
	v_mov_b32_e32 v59, v13
	v_fmac_f32_e32 v13, 0x3f52af12, v15
	v_add_f32_e32 v11, v13, v11
	v_add_f32_e32 v13, v58, v51
	v_fmac_f32_e32 v60, 0xbe750f2a, v15
	v_fmac_f32_e32 v59, 0xbf52af12, v15
	v_sub_f32_e32 v15, v57, v55
	v_mul_f32_e32 v51, 0xbf3f9e67, v13
	v_mov_b32_e32 v55, v51
	v_fmac_f32_e32 v51, 0xbf29c268, v15
	v_fmac_f32_e32 v55, 0x3f29c268, v15
	v_add_f32_e32 v16, v51, v16
	v_mul_f32_e32 v51, 0x3df6dbef, v13
	v_add_f32_e32 v17, v55, v17
	v_mov_b32_e32 v55, v51
	v_fmac_f32_e32 v51, 0x3f7e222b, v15
	v_fmac_f32_e32 v55, 0xbf7e222b, v15
	v_add_f32_e32 v18, v51, v18
	v_mul_f32_e32 v51, 0x3f116cb1, v13
	v_add_f32_e32 v19, v55, v19
	;; [unrolled: 6-line block ×4, first 2 shown]
	v_mov_b32_e32 v55, v51
	v_fmac_f32_e32 v51, 0x3eedf032, v15
	v_mul_f32_e32 v13, 0xbeb58ec6, v13
	v_add_f32_e32 v24, v51, v24
	v_mov_b32_e32 v51, v13
	v_fmac_f32_e32 v13, 0xbf6f5d39, v15
	v_add_f32_e32 v11, v13, v11
	v_add_f32_e32 v13, v14, v47
	v_sub_f32_e32 v12, v12, v46
	v_mul_f32_e32 v14, 0xbf788fa5, v13
	v_fmac_f32_e32 v55, 0xbeedf032, v15
	v_fmac_f32_e32 v51, 0x3f6f5d39, v15
	v_mov_b32_e32 v15, v14
	v_fmac_f32_e32 v14, 0xbe750f2a, v12
	v_fmac_f32_e32 v15, 0x3e750f2a, v12
	v_add_f32_e32 v76, v14, v16
	v_mul_f32_e32 v14, 0x3f62ad3f, v13
	v_add_f32_e32 v74, v15, v17
	v_mov_b32_e32 v15, v14
	v_fmac_f32_e32 v14, 0x3eedf032, v12
	v_fmac_f32_e32 v15, 0xbeedf032, v12
	v_add_f32_e32 v78, v14, v18
	v_mul_f32_e32 v14, 0xbf3f9e67, v13
	v_add_f32_e32 v77, v15, v19
	;; [unrolled: 6-line block ×4, first 2 shown]
	v_add_f32_e32 v26, v72, v26
	v_add_f32_e32 v81, v15, v23
	v_mov_b32_e32 v15, v14
	v_fmac_f32_e32 v14, 0xbf6f5d39, v12
	v_mul_f32_e32 v13, 0x3df6dbef, v13
	v_add_f32_e32 v25, v60, v25
	v_add_f32_e32 v26, v59, v26
	;; [unrolled: 1-line block ×3, first 2 shown]
	v_mov_b32_e32 v14, v13
	v_add_f32_e32 v25, v55, v25
	v_add_f32_e32 v26, v51, v26
	v_fmac_f32_e32 v15, 0x3f6f5d39, v12
	v_fmac_f32_e32 v14, 0xbf7e222b, v12
	;; [unrolled: 1-line block ×3, first 2 shown]
	v_add_u32_e32 v46, 0x800, v64
	v_add_u32_e32 v51, 0xc00, v64
	v_add_u32_e32 v47, 0x400, v64
	v_add_u32_e32 v72, 0x600, v64
	v_add_u32_e32 v73, 0xe00, v64
	v_add_f32_e32 v83, v15, v25
	v_add_f32_e32 v85, v14, v26
	;; [unrolled: 1-line block ×3, first 2 shown]
	s_waitcnt lgkmcnt(0)
	; wave barrier
	s_waitcnt lgkmcnt(0)
	ds_read2_b32 v[11:12], v64 offset1:208
	ds_read_b32 v59, v71
	ds_read_b32 v58, v5
	ds_read2_b32 v[17:18], v46 offset0:60 offset1:112
	ds_read2_b32 v[25:26], v51 offset0:12 offset1:64
	;; [unrolled: 1-line block ×3, first 2 shown]
	ds_read_b32 v57, v67
	ds_read2_b32 v[21:22], v47 offset0:4 offset1:108
	ds_read2_b32 v[23:24], v72 offset0:32 offset1:136
	;; [unrolled: 1-line block ×4, first 2 shown]
	ds_read_b32 v60, v68
	ds_read_b32 v55, v7
	s_waitcnt lgkmcnt(0)
	; wave barrier
	s_waitcnt lgkmcnt(0)
	ds_write2_b32 v89, v90, v74 offset1:4
	ds_write2_b32 v89, v77, v79 offset0:8 offset1:12
	ds_write2_b32 v89, v81, v83 offset0:16 offset1:20
	;; [unrolled: 1-line block ×5, first 2 shown]
	ds_write_b32 v89, v76 offset:192
	s_and_saveexec_b64 s[2:3], s[0:1]
	s_cbranch_execz .LBB0_35
; %bb.34:
	v_add_f32_e32 v74, v54, v49
	v_add_f32_e32 v74, v74, v45
	;; [unrolled: 1-line block ×12, first 2 shown]
	v_sub_f32_e32 v48, v48, v56
	v_mul_f32_e32 v56, 0x3f62ad3f, v49
	v_mul_f32_e32 v76, 0x3f116cb1, v49
	;; [unrolled: 1-line block ×6, first 2 shown]
	v_add_f32_e32 v31, v45, v31
	v_add_f32_e32 v74, v74, v75
	v_mov_b32_e32 v75, v56
	v_fmac_f32_e32 v56, 0xbeedf032, v48
	v_mov_b32_e32 v77, v76
	v_mov_b32_e32 v79, v78
	;; [unrolled: 1-line block ×5, first 2 shown]
	v_fmac_f32_e32 v49, 0xbe750f2a, v48
	v_sub_f32_e32 v44, v44, v52
	v_mul_f32_e32 v45, 0x3f116cb1, v31
	v_fmac_f32_e32 v75, 0x3eedf032, v48
	v_add_f32_e32 v56, v54, v56
	v_fmac_f32_e32 v77, 0x3f52af12, v48
	v_fmac_f32_e32 v76, 0xbf52af12, v48
	;; [unrolled: 1-line block ×9, first 2 shown]
	v_add_f32_e32 v48, v54, v49
	v_mov_b32_e32 v49, v45
	v_fmac_f32_e32 v45, 0xbf52af12, v44
	v_mul_f32_e32 v52, 0xbeb58ec6, v31
	v_add_f32_e32 v75, v54, v75
	v_add_f32_e32 v77, v54, v77
	;; [unrolled: 1-line block ×10, first 2 shown]
	v_fmac_f32_e32 v49, 0x3f52af12, v44
	v_add_f32_e32 v45, v45, v56
	v_mov_b32_e32 v54, v52
	v_fmac_f32_e32 v52, 0xbf6f5d39, v44
	v_mul_f32_e32 v56, 0xbf788fa5, v31
	v_add_f32_e32 v49, v49, v75
	v_fmac_f32_e32 v54, 0x3f6f5d39, v44
	v_add_f32_e32 v52, v52, v76
	v_mov_b32_e32 v75, v56
	v_fmac_f32_e32 v56, 0xbe750f2a, v44
	v_mul_f32_e32 v76, 0xbf3f9e67, v31
	v_add_f32_e32 v54, v54, v77
	v_fmac_f32_e32 v75, 0x3e750f2a, v44
	v_add_f32_e32 v56, v56, v78
	v_mov_b32_e32 v77, v76
	v_fmac_f32_e32 v76, 0x3f29c268, v44
	v_mul_f32_e32 v78, 0x3df6dbef, v31
	v_mul_f32_e32 v31, 0x3f62ad3f, v31
	v_add_f32_e32 v36, v42, v36
	v_add_f32_e32 v75, v75, v79
	;; [unrolled: 1-line block ×3, first 2 shown]
	v_mov_b32_e32 v79, v78
	v_mov_b32_e32 v80, v31
	v_sub_f32_e32 v41, v41, v50
	v_mul_f32_e32 v42, 0x3df6dbef, v36
	v_fmac_f32_e32 v77, 0xbf29c268, v44
	v_fmac_f32_e32 v79, 0xbf7e222b, v44
	;; [unrolled: 1-line block ×5, first 2 shown]
	v_mov_b32_e32 v44, v42
	v_fmac_f32_e32 v42, 0xbf7e222b, v41
	v_fmac_f32_e32 v44, 0x3f7e222b, v41
	v_add_f32_e32 v42, v42, v45
	v_mul_f32_e32 v45, 0xbf788fa5, v36
	v_add_f32_e32 v31, v31, v48
	v_add_f32_e32 v44, v44, v49
	v_mov_b32_e32 v48, v45
	v_fmac_f32_e32 v45, 0xbe750f2a, v41
	v_mul_f32_e32 v49, 0xbeb58ec6, v36
	v_fmac_f32_e32 v48, 0x3e750f2a, v41
	v_add_f32_e32 v45, v45, v52
	v_mov_b32_e32 v50, v49
	v_fmac_f32_e32 v49, 0x3f6f5d39, v41
	v_mul_f32_e32 v52, 0x3f62ad3f, v36
	v_add_f32_e32 v48, v48, v54
	v_add_f32_e32 v49, v49, v56
	v_mov_b32_e32 v54, v52
	v_fmac_f32_e32 v52, 0x3eedf032, v41
	v_mul_f32_e32 v56, 0x3f116cb1, v36
	v_mul_f32_e32 v36, 0xbf3f9e67, v36
	v_fmac_f32_e32 v50, 0xbf6f5d39, v41
	v_add_f32_e32 v52, v52, v76
	v_mov_b32_e32 v76, v36
	v_fmac_f32_e32 v36, 0xbf29c268, v41
	v_add_f32_e32 v35, v38, v35
	v_add_f32_e32 v50, v50, v75
	v_mov_b32_e32 v75, v56
	v_add_f32_e32 v31, v36, v31
	v_sub_f32_e32 v36, v37, v43
	v_mul_f32_e32 v37, 0xbeb58ec6, v35
	v_fmac_f32_e32 v54, 0xbeedf032, v41
	v_fmac_f32_e32 v75, 0x3f52af12, v41
	;; [unrolled: 1-line block ×4, first 2 shown]
	v_mov_b32_e32 v38, v37
	v_fmac_f32_e32 v37, 0xbf6f5d39, v36
	v_mul_f32_e32 v41, 0xbf3f9e67, v35
	v_fmac_f32_e32 v38, 0x3f6f5d39, v36
	v_add_f32_e32 v37, v37, v42
	v_mov_b32_e32 v42, v41
	v_fmac_f32_e32 v41, 0x3f29c268, v36
	v_mul_f32_e32 v43, 0x3f62ad3f, v35
	v_add_f32_e32 v38, v38, v44
	v_fmac_f32_e32 v42, 0xbf29c268, v36
	v_add_f32_e32 v41, v41, v45
	v_mov_b32_e32 v44, v43
	v_fmac_f32_e32 v43, 0x3eedf032, v36
	v_mul_f32_e32 v45, 0x3df6dbef, v35
	v_add_f32_e32 v42, v42, v48
	v_add_f32_e32 v43, v43, v49
	v_mov_b32_e32 v48, v45
	v_fmac_f32_e32 v45, 0xbf7e222b, v36
	v_mul_f32_e32 v49, 0xbf788fa5, v35
	v_mul_f32_e32 v35, 0x3f116cb1, v35
	v_fmac_f32_e32 v44, 0xbeedf032, v36
	v_add_f32_e32 v45, v45, v52
	v_mov_b32_e32 v52, v35
	v_fmac_f32_e32 v35, 0x3f52af12, v36
	v_add_f32_e32 v34, v34, v40
	v_add_f32_e32 v44, v44, v50
	v_mov_b32_e32 v50, v49
	v_add_f32_e32 v31, v35, v31
	v_sub_f32_e32 v33, v33, v39
	v_mul_f32_e32 v35, 0xbf3f9e67, v34
	v_fmac_f32_e32 v48, 0x3f7e222b, v36
	v_fmac_f32_e32 v50, 0xbe750f2a, v36
	;; [unrolled: 1-line block ×4, first 2 shown]
	v_mov_b32_e32 v36, v35
	v_fmac_f32_e32 v35, 0xbf29c268, v33
	v_fmac_f32_e32 v36, 0x3f29c268, v33
	v_add_f32_e32 v35, v35, v37
	v_mul_f32_e32 v37, 0x3df6dbef, v34
	v_add_f32_e32 v36, v36, v38
	v_mov_b32_e32 v38, v37
	v_fmac_f32_e32 v37, 0x3f7e222b, v33
	v_mul_f32_e32 v39, 0x3f116cb1, v34
	v_fmac_f32_e32 v38, 0xbf7e222b, v33
	v_add_f32_e32 v37, v37, v41
	v_mov_b32_e32 v40, v39
	v_fmac_f32_e32 v39, 0xbf52af12, v33
	v_mul_f32_e32 v41, 0xbf788fa5, v34
	v_add_f32_e32 v38, v38, v42
	v_fmac_f32_e32 v40, 0x3f52af12, v33
	v_add_f32_e32 v39, v39, v43
	v_mov_b32_e32 v42, v41
	v_fmac_f32_e32 v41, 0x3e750f2a, v33
	v_mul_f32_e32 v43, 0x3f62ad3f, v34
	v_mul_f32_e32 v34, 0xbeb58ec6, v34
	v_add_f32_e32 v28, v28, v30
	v_add_f32_e32 v40, v40, v44
	;; [unrolled: 1-line block ×3, first 2 shown]
	v_mov_b32_e32 v44, v43
	v_mov_b32_e32 v45, v34
	v_sub_f32_e32 v27, v27, v29
	v_mul_f32_e32 v29, 0xbf788fa5, v28
	v_fmac_f32_e32 v42, 0xbe750f2a, v33
	v_fmac_f32_e32 v44, 0xbeedf032, v33
	;; [unrolled: 1-line block ×5, first 2 shown]
	v_mov_b32_e32 v30, v29
	v_fmac_f32_e32 v29, 0xbe750f2a, v27
	v_mul_f32_e32 v33, 0x3f62ad3f, v28
	v_add_f32_e32 v31, v34, v31
	v_fmac_f32_e32 v30, 0x3e750f2a, v27
	v_add_f32_e32 v29, v29, v35
	v_mov_b32_e32 v34, v33
	v_fmac_f32_e32 v33, 0x3eedf032, v27
	v_mul_f32_e32 v35, 0xbf3f9e67, v28
	v_mul_lo_u32 v32, v32, 52
	v_add_f32_e32 v30, v30, v36
	v_fmac_f32_e32 v34, 0xbeedf032, v27
	v_add_f32_e32 v33, v33, v37
	v_mov_b32_e32 v36, v35
	v_fmac_f32_e32 v35, 0xbf29c268, v27
	v_mul_f32_e32 v37, 0x3f116cb1, v28
	v_add_f32_e32 v77, v77, v81
	v_add_f32_e32 v79, v79, v83
	;; [unrolled: 1-line block ×5, first 2 shown]
	v_fmac_f32_e32 v36, 0x3f29c268, v27
	v_add_f32_e32 v35, v35, v39
	v_mov_b32_e32 v38, v37
	v_fmac_f32_e32 v37, 0x3f52af12, v27
	v_mul_f32_e32 v39, 0xbeb58ec6, v28
	v_mul_f32_e32 v28, 0x3df6dbef, v28
	v_add_f32_e32 v54, v54, v77
	v_add_f32_e32 v75, v75, v79
	;; [unrolled: 1-line block ×6, first 2 shown]
	v_mov_b32_e32 v40, v39
	v_mov_b32_e32 v41, v28
	v_fmac_f32_e32 v28, 0x3f7e222b, v27
	v_add_f32_e32 v48, v48, v54
	v_add_f32_e32 v50, v50, v75
	;; [unrolled: 1-line block ×4, first 2 shown]
	v_fmac_f32_e32 v38, 0xbf52af12, v27
	v_fmac_f32_e32 v40, 0x3f6f5d39, v27
	;; [unrolled: 1-line block ×4, first 2 shown]
	v_add_f32_e32 v27, v28, v31
	v_or_b32_e32 v28, v32, v53
	v_add_f32_e32 v42, v42, v48
	v_add_f32_e32 v44, v44, v50
	;; [unrolled: 1-line block ×4, first 2 shown]
	v_lshl_add_u32 v28, v28, 2, 0
	v_add_f32_e32 v38, v38, v42
	v_add_f32_e32 v40, v40, v44
	;; [unrolled: 1-line block ×4, first 2 shown]
	ds_write2_b32 v28, v74, v30 offset1:4
	ds_write2_b32 v28, v34, v36 offset0:8 offset1:12
	ds_write2_b32 v28, v38, v40 offset0:16 offset1:20
	ds_write2_b32 v28, v41, v27 offset0:24 offset1:28
	ds_write2_b32 v28, v39, v37 offset0:32 offset1:36
	ds_write2_b32 v28, v35, v33 offset0:40 offset1:44
	ds_write_b32 v28, v29 offset:192
.LBB0_35:
	s_or_b64 exec, exec, s[2:3]
	v_mul_u32_u24_e32 v27, 6, v61
	v_lshlrev_b32_e32 v39, 3, v27
	s_movk_i32 s0, 0x4f
	s_waitcnt lgkmcnt(0)
	; wave barrier
	s_waitcnt lgkmcnt(0)
	global_load_dwordx4 v[27:30], v39, s[8:9] offset:400
	global_load_dwordx4 v[31:34], v39, s[8:9] offset:416
	;; [unrolled: 1-line block ×3, first 2 shown]
	v_mul_lo_u16_sdwa v39, v65, s0 dst_sel:DWORD dst_unused:UNUSED_PAD src0_sel:BYTE_0 src1_sel:DWORD
	v_lshrrev_b16_e32 v39, 12, v39
	v_mul_lo_u16_e32 v39, 52, v39
	v_sub_u16_e32 v39, v65, v39
	v_and_b32_e32 v45, 0xff, v39
	v_mul_u32_u24_e32 v39, 6, v45
	v_lshlrev_b32_e32 v43, 3, v39
	global_load_dwordx4 v[39:42], v43, s[8:9] offset:400
	global_load_dwordx4 v[74:77], v43, s[8:9] offset:416
	;; [unrolled: 1-line block ×3, first 2 shown]
	ds_read2_b32 v[43:44], v64 offset1:208
	ds_read_b32 v50, v71
	ds_read_b32 v5, v5
	ds_read2_b32 v[48:49], v46 offset0:60 offset1:112
	ds_read2_b32 v[52:53], v51 offset0:12 offset1:64
	;; [unrolled: 1-line block ×3, first 2 shown]
	ds_read_b32 v54, v67
	ds_read2_b32 v[84:85], v47 offset0:4 offset1:108
	ds_read_b32 v56, v68
	ds_read2_b32 v[86:87], v72 offset0:32 offset1:136
	ds_read2_b32 v[88:89], v46 offset0:164 offset1:216
	ds_read2_b32 v[72:73], v73 offset0:92 offset1:144
	ds_read_b32 v65, v7
	s_mov_b32 s0, 0xbf5ff5aa
	s_mov_b32 s1, 0x3f3bfb3b
	;; [unrolled: 1-line block ×4, first 2 shown]
	s_waitcnt lgkmcnt(0)
	; wave barrier
	s_waitcnt vmcnt(5) lgkmcnt(0)
	v_mul_f32_e32 v90, v56, v28
	v_mul_f32_e32 v92, v50, v30
	s_waitcnt vmcnt(3)
	v_mul_f32_e32 v98, v52, v36
	v_mul_f32_e32 v100, v83, v38
	;; [unrolled: 1-line block ×16, first 2 shown]
	v_fmac_f32_e32 v90, v60, v27
	v_fmac_f32_e32 v92, v59, v29
	;; [unrolled: 1-line block ×4, first 2 shown]
	v_mul_f32_e32 v107, v72, v38
	v_mul_f32_e32 v38, v15, v38
	v_fma_f32 v56, v56, v27, -v91
	v_fma_f32 v50, v50, v29, -v93
	v_fmac_f32_e32 v94, v58, v31
	v_fma_f32 v5, v5, v31, -v95
	v_fmac_f32_e32 v96, v18, v33
	v_fma_f32 v18, v49, v33, -v97
	v_fma_f32 v25, v52, v35, -v99
	;; [unrolled: 1-line block ×3, first 2 shown]
	v_fmac_f32_e32 v102, v12, v27
	v_fma_f32 v12, v44, v27, -v28
	v_fmac_f32_e32 v105, v19, v33
	v_fma_f32 v19, v88, v33, -v34
	;; [unrolled: 2-line block ×3, first 2 shown]
	s_waitcnt vmcnt(2)
	v_mul_f32_e32 v27, v84, v40
	v_mul_f32_e32 v28, v21, v40
	v_add_f32_e32 v33, v90, v100
	v_add_f32_e32 v36, v92, v98
	v_mul_f32_e32 v103, v85, v30
	v_mul_f32_e32 v30, v22, v30
	v_fmac_f32_e32 v107, v15, v37
	v_fma_f32 v15, v72, v37, -v38
	v_fmac_f32_e32 v27, v21, v39
	v_fma_f32 v21, v84, v39, -v28
	v_add_f32_e32 v34, v56, v14
	v_add_f32_e32 v37, v50, v25
	;; [unrolled: 1-line block ×4, first 2 shown]
	v_sub_f32_e32 v5, v18, v5
	v_add_f32_e32 v18, v36, v33
	v_mul_f32_e32 v104, v87, v32
	v_mul_f32_e32 v32, v24, v32
	v_fmac_f32_e32 v103, v22, v29
	v_fma_f32 v22, v85, v29, -v30
	v_mul_f32_e32 v29, v86, v42
	v_mul_f32_e32 v30, v23, v42
	v_add_f32_e32 v42, v37, v34
	v_add_f32_e32 v18, v39, v18
	v_fmac_f32_e32 v104, v24, v31
	v_fma_f32 v24, v87, v31, -v32
	s_waitcnt vmcnt(1)
	v_mul_f32_e32 v31, v48, v75
	v_mul_f32_e32 v32, v17, v75
	v_fmac_f32_e32 v29, v23, v41
	v_fma_f32 v23, v86, v41, -v30
	v_sub_f32_e32 v35, v90, v100
	v_sub_f32_e32 v38, v92, v98
	;; [unrolled: 1-line block ×7, first 2 shown]
	v_add_f32_e32 v39, v40, v42
	v_add_f32_e32 v11, v11, v18
	v_fmac_f32_e32 v31, v17, v74
	v_fma_f32 v17, v48, v74, -v32
	v_sub_f32_e32 v14, v56, v14
	v_sub_f32_e32 v48, v37, v34
	;; [unrolled: 1-line block ×4, first 2 shown]
	v_add_f32_e32 v49, v41, v38
	v_add_f32_e32 v50, v5, v25
	v_sub_f32_e32 v52, v41, v38
	v_sub_f32_e32 v53, v5, v25
	;; [unrolled: 1-line block ×3, first 2 shown]
	v_add_f32_e32 v40, v43, v39
	v_mov_b32_e32 v56, v11
	v_sub_f32_e32 v41, v35, v41
	v_sub_f32_e32 v5, v14, v5
	;; [unrolled: 1-line block ×3, first 2 shown]
	v_add_f32_e32 v35, v49, v35
	v_add_f32_e32 v14, v50, v14
	v_mul_f32_e32 v33, 0x3f4a47b2, v33
	v_mul_f32_e32 v34, 0x3f4a47b2, v34
	;; [unrolled: 1-line block ×7, first 2 shown]
	v_fmac_f32_e32 v56, 0xbf955555, v18
	v_mov_b32_e32 v18, v40
	v_mul_f32_e32 v53, 0xbf5ff5aa, v25
	v_fmac_f32_e32 v18, 0xbf955555, v39
	v_fma_f32 v39, v44, s1, -v42
	v_fma_f32 v42, v48, s1, -v43
	;; [unrolled: 1-line block ×3, first 2 shown]
	v_fmac_f32_e32 v33, 0x3d64c772, v36
	v_fma_f32 v36, v48, s2, -v34
	v_fmac_f32_e32 v34, 0x3d64c772, v37
	v_fma_f32 v37, v38, s0, -v49
	v_fma_f32 v25, v25, s0, -v50
	v_fmac_f32_e32 v50, 0xbeae86e6, v5
	v_fma_f32 v38, v41, s3, -v52
	v_fmac_f32_e32 v49, 0xbeae86e6, v41
	v_fma_f32 v5, v5, s3, -v53
	v_add_f32_e32 v33, v33, v56
	v_add_f32_e32 v34, v34, v18
	;; [unrolled: 1-line block ×5, first 2 shown]
	v_fmac_f32_e32 v50, 0xbee1c552, v14
	v_fmac_f32_e32 v25, 0xbee1c552, v14
	;; [unrolled: 1-line block ×3, first 2 shown]
	v_add_f32_e32 v42, v43, v56
	v_fmac_f32_e32 v5, 0xbee1c552, v14
	v_add_f32_e32 v14, v50, v33
	v_sub_f32_e32 v43, v18, v38
	v_sub_f32_e32 v44, v39, v25
	v_add_f32_e32 v25, v25, v39
	v_add_f32_e32 v38, v38, v18
	v_sub_f32_e32 v18, v33, v50
	v_add_f32_e32 v33, v102, v107
	v_add_f32_e32 v39, v12, v15
	;; [unrolled: 3-line block ×3, first 2 shown]
	v_sub_f32_e32 v5, v42, v5
	v_add_f32_e32 v42, v22, v26
	v_sub_f32_e32 v22, v22, v26
	v_add_f32_e32 v26, v104, v105
	v_add_f32_e32 v50, v24, v19
	v_sub_f32_e32 v19, v19, v24
	v_add_f32_e32 v24, v15, v33
	s_waitcnt vmcnt(0)
	v_mul_f32_e32 v32, v73, v81
	v_fmac_f32_e32 v49, 0xbee1c552, v35
	v_fmac_f32_e32 v37, 0xbee1c552, v35
	v_add_f32_e32 v53, v42, v39
	v_add_f32_e32 v24, v26, v24
	v_fmac_f32_e32 v32, v16, v80
	v_mul_f32_e32 v16, v16, v81
	v_sub_f32_e32 v35, v34, v49
	v_add_f32_e32 v48, v37, v41
	v_sub_f32_e32 v37, v41, v37
	v_add_f32_e32 v34, v49, v34
	v_sub_f32_e32 v41, v102, v107
	v_sub_f32_e32 v49, v103, v106
	;; [unrolled: 1-line block ×9, first 2 shown]
	v_add_f32_e32 v26, v50, v53
	v_add_f32_e32 v50, v57, v24
	v_fma_f32 v16, v73, v80, -v16
	v_add_f32_e32 v59, v52, v49
	v_add_f32_e32 v60, v19, v22
	v_sub_f32_e32 v72, v52, v49
	v_sub_f32_e32 v73, v19, v22
	;; [unrolled: 1-line block ×3, first 2 shown]
	v_add_f32_e32 v53, v54, v26
	v_mov_b32_e32 v74, v50
	v_sub_f32_e32 v52, v41, v52
	v_sub_f32_e32 v19, v12, v19
	;; [unrolled: 1-line block ×3, first 2 shown]
	v_add_f32_e32 v41, v59, v41
	v_add_f32_e32 v12, v60, v12
	v_mul_f32_e32 v33, 0x3f4a47b2, v33
	v_mul_f32_e32 v39, 0x3f4a47b2, v39
	;; [unrolled: 1-line block ×6, first 2 shown]
	v_fmac_f32_e32 v74, 0xbf955555, v24
	v_mov_b32_e32 v24, v53
	v_mul_f32_e32 v28, v89, v77
	v_mul_f32_e32 v30, v82, v79
	;; [unrolled: 1-line block ×4, first 2 shown]
	v_fmac_f32_e32 v24, 0xbf955555, v26
	v_fma_f32 v26, v56, s1, -v54
	v_fma_f32 v56, v56, s2, -v33
	v_fmac_f32_e32 v33, 0x3d64c772, v15
	v_fma_f32 v15, v58, s2, -v39
	v_fmac_f32_e32 v39, 0x3d64c772, v42
	v_fma_f32 v42, v49, s0, -v59
	v_fma_f32 v22, v22, s0, -v60
	v_fmac_f32_e32 v60, 0xbeae86e6, v19
	v_fma_f32 v49, v52, s3, -v72
	v_fmac_f32_e32 v28, v20, v76
	v_mul_f32_e32 v20, v20, v77
	v_fmac_f32_e32 v30, v13, v78
	v_mul_f32_e32 v13, v13, v79
	v_fma_f32 v54, v58, s1, -v57
	v_fma_f32 v19, v19, s3, -v73
	v_add_f32_e32 v33, v33, v74
	v_add_f32_e32 v26, v26, v74
	;; [unrolled: 1-line block ×3, first 2 shown]
	v_fmac_f32_e32 v60, 0xbee1c552, v12
	v_fmac_f32_e32 v22, 0xbee1c552, v12
	;; [unrolled: 1-line block ×3, first 2 shown]
	v_fma_f32 v20, v89, v76, -v20
	v_fma_f32 v13, v82, v78, -v13
	v_fmac_f32_e32 v59, 0xbeae86e6, v52
	v_add_f32_e32 v52, v54, v24
	v_add_f32_e32 v54, v56, v74
	v_fmac_f32_e32 v19, 0xbee1c552, v12
	v_add_f32_e32 v12, v60, v33
	v_sub_f32_e32 v56, v15, v49
	v_sub_f32_e32 v57, v26, v22
	v_add_f32_e32 v22, v22, v26
	v_add_f32_e32 v49, v49, v15
	v_sub_f32_e32 v15, v33, v60
	v_add_f32_e32 v26, v27, v32
	v_add_f32_e32 v33, v21, v16
	v_sub_f32_e32 v16, v21, v16
	v_add_f32_e32 v21, v29, v30
	v_sub_f32_e32 v27, v27, v32
	;; [unrolled: 2-line block ×3, first 2 shown]
	v_sub_f32_e32 v13, v23, v13
	v_add_f32_e32 v23, v31, v28
	v_add_f32_e32 v30, v17, v20
	v_sub_f32_e32 v17, v20, v17
	v_add_f32_e32 v20, v21, v26
	v_fmac_f32_e32 v42, 0xbee1c552, v41
	v_sub_f32_e32 v28, v28, v31
	v_add_f32_e32 v31, v32, v33
	v_add_f32_e32 v20, v23, v20
	;; [unrolled: 1-line block ×3, first 2 shown]
	v_fmac_f32_e32 v59, 0xbee1c552, v41
	v_add_f32_e32 v24, v19, v54
	v_add_f32_e32 v58, v42, v52
	v_sub_f32_e32 v42, v52, v42
	v_sub_f32_e32 v19, v54, v19
	v_sub_f32_e32 v52, v21, v26
	v_sub_f32_e32 v54, v32, v33
	v_sub_f32_e32 v26, v26, v23
	v_sub_f32_e32 v33, v33, v30
	v_sub_f32_e32 v21, v23, v21
	v_sub_f32_e32 v32, v30, v32
	v_add_f32_e32 v23, v30, v31
	v_add_f32_e32 v30, v55, v20
	v_sub_f32_e32 v41, v39, v59
	v_add_f32_e32 v39, v59, v39
	v_add_f32_e32 v59, v28, v29
	;; [unrolled: 1-line block ×3, first 2 shown]
	v_sub_f32_e32 v73, v17, v13
	v_sub_f32_e32 v13, v13, v16
	v_add_f32_e32 v55, v65, v23
	v_mov_b32_e32 v74, v30
	v_sub_f32_e32 v72, v28, v29
	v_sub_f32_e32 v28, v27, v28
	;; [unrolled: 1-line block ×4, first 2 shown]
	v_add_f32_e32 v27, v59, v27
	v_mul_f32_e32 v26, 0x3f4a47b2, v26
	v_mul_f32_e32 v31, 0x3f4a47b2, v33
	;; [unrolled: 1-line block ×6, first 2 shown]
	v_fmac_f32_e32 v74, 0xbf955555, v20
	v_mov_b32_e32 v20, v55
	v_add_f32_e32 v16, v60, v16
	v_mul_f32_e32 v60, 0x3f08b237, v72
	v_mul_f32_e32 v72, 0xbf5ff5aa, v29
	v_fmac_f32_e32 v20, 0xbf955555, v23
	v_fma_f32 v23, v52, s1, -v33
	v_fma_f32 v33, v54, s1, -v59
	;; [unrolled: 1-line block ×3, first 2 shown]
	v_fmac_f32_e32 v26, 0x3d64c772, v21
	v_fma_f32 v13, v13, s0, -v65
	v_fmac_f32_e32 v65, 0xbeae86e6, v17
	v_fma_f32 v17, v17, s3, -v73
	ds_write2_b32 v64, v11, v14 offset1:52
	ds_write2_b32 v64, v36, v44 offset0:104 offset1:156
	v_add_u32_e32 v11, 0x200, v64
	v_fma_f32 v21, v54, s2, -v31
	v_fmac_f32_e32 v31, 0x3d64c772, v32
	v_fma_f32 v29, v29, s0, -v60
	v_fmac_f32_e32 v60, 0xbeae86e6, v28
	v_fma_f32 v28, v28, s3, -v72
	v_add_f32_e32 v26, v26, v74
	v_add_f32_e32 v23, v23, v74
	;; [unrolled: 1-line block ×4, first 2 shown]
	v_fmac_f32_e32 v65, 0xbee1c552, v16
	v_fmac_f32_e32 v13, 0xbee1c552, v16
	;; [unrolled: 1-line block ×3, first 2 shown]
	ds_write2_b32 v11, v25, v5 offset0:80 offset1:132
	ds_write2_b32 v47, v18, v50 offset0:56 offset1:108
	;; [unrolled: 1-line block ×5, first 2 shown]
	v_lshl_add_u32 v5, v45, 2, 0
	v_add_f32_e32 v31, v31, v20
	v_add_f32_e32 v20, v21, v20
	v_fmac_f32_e32 v60, 0xbee1c552, v27
	v_fmac_f32_e32 v29, 0xbee1c552, v27
	;; [unrolled: 1-line block ×3, first 2 shown]
	v_add_f32_e32 v16, v65, v26
	v_add_f32_e32 v21, v17, v33
	v_sub_f32_e32 v27, v23, v13
	v_add_u32_e32 v36, 0xa00, v5
	v_add_u32_e32 v44, 0xc00, v5
	v_sub_f32_e32 v54, v20, v28
	v_add_f32_e32 v13, v13, v23
	v_sub_f32_e32 v17, v33, v17
	v_add_f32_e32 v73, v28, v20
	v_sub_f32_e32 v20, v26, v65
	ds_write2_b32 v36, v30, v16 offset0:88 offset1:140
	ds_write2_b32 v44, v21, v27 offset0:64 offset1:116
	;; [unrolled: 1-line block ×3, first 2 shown]
	ds_write_b32 v5, v20 offset:4160
	v_add_u32_e32 v27, 0xa00, v64
	v_sub_f32_e32 v52, v31, v60
	v_add_f32_e32 v59, v29, v32
	v_sub_f32_e32 v72, v32, v29
	v_add_f32_e32 v60, v60, v31
	s_waitcnt lgkmcnt(0)
	; wave barrier
	s_waitcnt lgkmcnt(0)
	ds_read_b32 v24, v64
	ds_read_b32 v25, v66
	ds_read2_b32 v[12:13], v27 offset0:88 offset1:140
	ds_read2_b32 v[14:15], v47 offset0:160 offset1:212
	;; [unrolled: 1-line block ×6, first 2 shown]
	ds_read_b32 v28, v7
	ds_read_b32 v29, v68
	;; [unrolled: 1-line block ×6, first 2 shown]
	ds_read_b32 v33, v64 offset:4160
	s_waitcnt lgkmcnt(0)
	; wave barrier
	s_waitcnt lgkmcnt(0)
	ds_write2_b32 v64, v40, v35 offset1:52
	ds_write2_b32 v64, v43, v48 offset0:104 offset1:156
	ds_write2_b32 v11, v37, v38 offset0:80 offset1:132
	;; [unrolled: 1-line block ×9, first 2 shown]
	ds_write_b32 v5, v60 offset:4160
	s_waitcnt lgkmcnt(0)
	; wave barrier
	s_waitcnt lgkmcnt(0)
	s_and_saveexec_b64 s[0:1], vcc
	s_cbranch_execz .LBB0_37
; %bb.36:
	v_mov_b32_e32 v5, 0
	v_lshlrev_b64 v[34:35], 3, v[4:5]
	v_mov_b32_e32 v11, v5
	v_mov_b32_e32 v56, s9
	v_add_co_u32_e32 v34, vcc, s8, v34
	v_lshlrev_b64 v[10:11], 3, v[10:11]
	v_addc_co_u32_e32 v35, vcc, v56, v35, vcc
	v_add_co_u32_e32 v10, vcc, s8, v10
	global_load_dwordx4 v[34:37], v[34:35], off offset:2896
	v_addc_co_u32_e32 v11, vcc, v56, v11, vcc
	global_load_dwordx4 v[38:41], v[10:11], off offset:2896
	v_mov_b32_e32 v10, v5
	v_lshlrev_b64 v[9:10], 3, v[9:10]
	v_add_u32_e32 v4, 0x800, v64
	v_add_co_u32_e32 v9, vcc, s8, v9
	v_addc_co_u32_e32 v10, vcc, v56, v10, vcc
	global_load_dwordx4 v[42:45], v[9:10], off offset:2896
	v_mov_b32_e32 v9, v5
	v_lshlrev_b64 v[8:9], 3, v[8:9]
	v_add_u32_e32 v57, 0xc00, v64
	ds_read_b32 v58, v71
	ds_read_b32 v59, v70
	;; [unrolled: 1-line block ×6, first 2 shown]
	ds_read_b32 v69, v64 offset:4160
	ds_read_b32 v70, v64
	ds_read2_b32 v[10:11], v4 offset0:112 offset1:164
	ds_read2_b32 v[54:55], v57 offset0:168 offset1:220
	v_mov_b32_e32 v7, v5
	v_lshlrev_b64 v[6:7], 3, v[6:7]
	v_add_co_u32_e32 v8, vcc, s8, v8
	v_addc_co_u32_e32 v9, vcc, v56, v9, vcc
	v_add_co_u32_e32 v6, vcc, s8, v6
	v_addc_co_u32_e32 v7, vcc, v56, v7, vcc
	global_load_dwordx4 v[46:49], v[8:9], off offset:2896
	global_load_dwordx4 v[50:53], v[6:7], off offset:2896
	s_waitcnt vmcnt(4)
	v_mul_f32_e32 v6, v23, v35
	v_mul_f32_e32 v7, v33, v37
	s_waitcnt lgkmcnt(1)
	v_mul_f32_e32 v8, v11, v35
	v_mul_f32_e32 v35, v69, v37
	v_fma_f32 v6, v34, v11, -v6
	v_fma_f32 v7, v36, v69, -v7
	v_fmac_f32_e32 v8, v23, v34
	v_fmac_f32_e32 v35, v33, v36
	s_waitcnt vmcnt(3)
	v_mul_f32_e32 v9, v22, v39
	v_mul_f32_e32 v11, v21, v41
	;; [unrolled: 1-line block ×3, first 2 shown]
	s_waitcnt lgkmcnt(0)
	v_mul_f32_e32 v33, v55, v41
	v_add_f32_e32 v34, v6, v7
	v_fma_f32 v69, v38, v10, -v9
	v_fma_f32 v55, v40, v55, -v11
	v_fmac_f32_e32 v23, v22, v38
	v_fmac_f32_e32 v33, v21, v40
	v_fma_f32 v9, -0.5, v34, v58
	v_add_f32_e32 v21, v69, v55
	v_add_f32_e32 v34, v23, v33
	;; [unrolled: 1-line block ×4, first 2 shown]
	v_fma_f32 v22, -0.5, v21, v59
	v_fma_f32 v21, -0.5, v34, v31
	v_sub_f32_e32 v36, v8, v35
	v_fma_f32 v8, -0.5, v37, v32
	v_add_f32_e32 v10, v41, v35
	v_sub_f32_e32 v37, v69, v55
	v_mov_b32_e32 v35, v21
	v_fmac_f32_e32 v35, 0x3f5db3d7, v37
	v_fmac_f32_e32 v21, 0xbf5db3d7, v37
	ds_read2_b32 v[37:38], v4 offset0:8 offset1:60
	v_sub_f32_e32 v39, v6, v7
	v_add_f32_e32 v6, v58, v6
	v_add_f32_e32 v11, v6, v7
	v_mov_b32_e32 v6, v8
	v_add_f32_e32 v4, v31, v23
	v_fmac_f32_e32 v8, 0xbf5db3d7, v39
	v_fmac_f32_e32 v6, 0x3f5db3d7, v39
	v_add_f32_e32 v39, v4, v33
	s_waitcnt vmcnt(2)
	v_mul_f32_e32 v4, v19, v43
	v_sub_f32_e32 v32, v23, v33
	s_waitcnt lgkmcnt(0)
	v_fma_f32 v23, v42, v38, -v4
	v_mul_f32_e32 v4, v20, v45
	v_fma_f32 v41, v44, v54, -v4
	v_mov_b32_e32 v4, v5
	v_lshlrev_b64 v[3:4], 3, v[3:4]
	v_mov_b32_e32 v7, v9
	v_fmac_f32_e32 v9, 0x3f5db3d7, v36
	v_fmac_f32_e32 v7, 0xbf5db3d7, v36
	v_mov_b32_e32 v36, v22
	v_add_co_u32_e32 v3, vcc, s8, v3
	v_fmac_f32_e32 v22, 0x3f5db3d7, v32
	v_fmac_f32_e32 v36, 0xbf5db3d7, v32
	v_add_f32_e32 v32, v59, v69
	v_addc_co_u32_e32 v4, vcc, v56, v4, vcc
	v_add_f32_e32 v40, v32, v55
	global_load_dwordx4 v[31:34], v[3:4], off offset:2896
	v_add_f32_e32 v3, v23, v41
	v_mul_f32_e32 v38, v38, v43
	v_mul_f32_e32 v45, v54, v45
	v_fma_f32 v55, -0.5, v3, v60
	v_fmac_f32_e32 v38, v19, v42
	v_fmac_f32_e32 v45, v20, v44
	v_sub_f32_e32 v3, v38, v45
	v_mov_b32_e32 v20, v55
	v_fmac_f32_e32 v20, 0xbf5db3d7, v3
	v_fmac_f32_e32 v55, 0x3f5db3d7, v3
	v_add_f32_e32 v3, v60, v23
	v_add_f32_e32 v42, v3, v41
	v_mov_b32_e32 v3, v5
	v_lshlrev_b64 v[2:3], 3, v[2:3]
	v_add_f32_e32 v4, v38, v45
	v_fma_f32 v54, -0.5, v4, v30
	v_add_co_u32_e32 v2, vcc, s8, v2
	v_sub_f32_e32 v4, v23, v41
	v_mov_b32_e32 v19, v54
	v_addc_co_u32_e32 v3, vcc, v56, v3, vcc
	v_fmac_f32_e32 v19, 0x3f5db3d7, v4
	v_fmac_f32_e32 v54, 0xbf5db3d7, v4
	global_load_dwordx4 v[2:5], v[2:3], off offset:2896
	ds_read2_b32 v[43:44], v57 offset0:64 offset1:116
	v_add_f32_e32 v23, v30, v38
	v_add_f32_e32 v41, v23, v45
	s_waitcnt vmcnt(3)
	v_mul_f32_e32 v23, v18, v47
	v_mul_f32_e32 v30, v17, v49
	;; [unrolled: 1-line block ×3, first 2 shown]
	v_fma_f32 v23, v46, v37, -v23
	s_waitcnt lgkmcnt(0)
	v_fma_f32 v30, v48, v44, -v30
	v_fmac_f32_e32 v47, v18, v46
	v_mul_f32_e32 v46, v44, v49
	v_add_f32_e32 v38, v23, v30
	v_fmac_f32_e32 v46, v17, v48
	v_fma_f32 v38, -0.5, v38, v65
	v_add_f32_e32 v17, v47, v46
	v_sub_f32_e32 v44, v47, v46
	v_mov_b32_e32 v18, v38
	v_fma_f32 v37, -0.5, v17, v29
	v_fmac_f32_e32 v18, 0xbf5db3d7, v44
	v_sub_f32_e32 v45, v23, v30
	v_mov_b32_e32 v17, v37
	v_fmac_f32_e32 v38, 0x3f5db3d7, v44
	v_add_u32_e32 v44, 0x400, v64
	v_fmac_f32_e32 v17, 0x3f5db3d7, v45
	v_fmac_f32_e32 v37, 0xbf5db3d7, v45
	ds_read2_b32 v[44:45], v44 offset0:160 offset1:212
	v_add_f32_e32 v23, v65, v23
	v_add_f32_e32 v30, v23, v30
	;; [unrolled: 1-line block ×4, first 2 shown]
	s_waitcnt vmcnt(2)
	v_mul_f32_e32 v23, v15, v51
	v_mul_f32_e32 v46, v16, v53
	s_waitcnt lgkmcnt(0)
	v_fma_f32 v23, v50, v45, -v23
	v_fma_f32 v47, v52, v43, -v46
	v_add_f32_e32 v46, v23, v47
	v_mul_f32_e32 v49, v45, v51
	v_mul_f32_e32 v43, v43, v53
	v_fma_f32 v46, -0.5, v46, v68
	v_fmac_f32_e32 v49, v15, v50
	v_fmac_f32_e32 v43, v16, v52
	v_sub_f32_e32 v48, v49, v43
	v_mov_b32_e32 v16, v46
	v_add_f32_e32 v15, v49, v43
	v_sub_f32_e32 v50, v23, v47
	v_add_f32_e32 v23, v68, v23
	v_fmac_f32_e32 v16, 0xbf5db3d7, v48
	v_fma_f32 v45, -0.5, v15, v28
	v_fmac_f32_e32 v46, 0x3f5db3d7, v48
	v_add_f32_e32 v48, v23, v47
	v_add_f32_e32 v23, v28, v49
	ds_read2_b32 v[27:28], v27 offset0:88 offset1:140
	v_add_f32_e32 v47, v23, v43
	v_mov_b32_e32 v15, v45
	v_fmac_f32_e32 v15, 0x3f5db3d7, v50
	v_fmac_f32_e32 v45, 0xbf5db3d7, v50
	s_waitcnt vmcnt(1)
	v_mul_f32_e32 v23, v14, v32
	v_mul_f32_e32 v43, v13, v34
	v_fma_f32 v23, v31, v44, -v23
	s_waitcnt lgkmcnt(0)
	v_fma_f32 v43, v33, v28, -v43
	v_mul_f32_e32 v44, v44, v32
	v_mul_f32_e32 v28, v28, v34
	v_fmac_f32_e32 v44, v14, v31
	v_fmac_f32_e32 v28, v13, v33
	v_add_f32_e32 v49, v23, v43
	v_add_f32_e32 v13, v44, v28
	ds_read_b32 v33, v66
	v_fma_f32 v50, -0.5, v49, v67
	v_fma_f32 v49, -0.5, v13, v26
	v_sub_f32_e32 v32, v23, v43
	v_mov_b32_e32 v13, v49
	v_add_f32_e32 v23, v67, v23
	v_sub_f32_e32 v31, v44, v28
	v_mov_b32_e32 v14, v50
	v_fmac_f32_e32 v13, 0x3f5db3d7, v32
	v_fmac_f32_e32 v49, 0xbf5db3d7, v32
	v_add_f32_e32 v32, v23, v43
	v_add_f32_e32 v23, v26, v44
	v_fmac_f32_e32 v14, 0xbf5db3d7, v31
	v_fmac_f32_e32 v50, 0x3f5db3d7, v31
	v_add_f32_e32 v31, v23, v28
	s_waitcnt vmcnt(0)
	v_mul_f32_e32 v23, v25, v3
	s_waitcnt lgkmcnt(0)
	v_fma_f32 v23, v2, v33, -v23
	v_mul_f32_e32 v26, v12, v5
	v_mul_f32_e32 v33, v33, v3
	;; [unrolled: 1-line block ×3, first 2 shown]
	v_fma_f32 v34, v4, v27, -v26
	v_fmac_f32_e32 v33, v25, v2
	v_fmac_f32_e32 v43, v12, v4
	v_mad_u64_u32 v[4:5], s[0:1], s12, v61, 0
	v_add_f32_e32 v2, v33, v43
	v_fma_f32 v25, -0.5, v2, v24
	v_sub_f32_e32 v27, v23, v34
	v_mov_b32_e32 v2, v25
	v_add_f32_e32 v26, v23, v34
	v_fmac_f32_e32 v2, 0x3f5db3d7, v27
	v_fmac_f32_e32 v25, 0xbf5db3d7, v27
	v_mad_u64_u32 v[27:28], s[0:1], s13, v61, v[5:6]
	v_fma_f32 v26, -0.5, v26, v70
	v_sub_f32_e32 v12, v33, v43
	v_mov_b32_e32 v3, v26
	v_fmac_f32_e32 v3, 0xbf5db3d7, v12
	v_fmac_f32_e32 v26, 0x3f5db3d7, v12
	v_add_f32_e32 v12, v70, v23
	v_add_f32_e32 v5, v24, v33
	;; [unrolled: 1-line block ×4, first 2 shown]
	v_mov_b32_e32 v5, v27
	v_mov_b32_e32 v12, s15
	v_add_co_u32_e32 v43, vcc, s14, v0
	v_add_u32_e32 v23, 0x16c, v61
	v_addc_co_u32_e32 v12, vcc, v12, v1, vcc
	v_lshlrev_b64 v[0:1], 3, v[4:5]
	v_mad_u64_u32 v[4:5], s[0:1], s12, v23, 0
	v_add_co_u32_e32 v0, vcc, v43, v0
	v_mad_u64_u32 v[23:24], s[0:1], s13, v23, v[5:6]
	v_add_u32_e32 v24, 0x2d8, v61
	v_mad_u64_u32 v[27:28], s[0:1], s12, v24, 0
	v_addc_co_u32_e32 v1, vcc, v12, v1, vcc
	v_mov_b32_e32 v5, v23
	global_store_dwordx2 v[0:1], v[33:34], off
	v_lshlrev_b64 v[0:1], 3, v[4:5]
	v_mov_b32_e32 v4, v28
	v_mad_u64_u32 v[4:5], s[0:1], s13, v24, v[4:5]
	v_add_co_u32_e32 v0, vcc, v43, v0
	v_mov_b32_e32 v28, v4
	v_mad_u64_u32 v[4:5], s[2:3], s12, v62, 0
	v_addc_co_u32_e32 v1, vcc, v12, v1, vcc
	global_store_dwordx2 v[0:1], v[25:26], off
	v_mad_u64_u32 v[23:24], s[2:3], s13, v62, v[5:6]
	v_add_u32_e32 v26, 0x1a0, v61
	v_lshlrev_b64 v[0:1], 3, v[27:28]
	v_mad_u64_u32 v[24:25], s[2:3], s12, v26, 0
	v_add_co_u32_e32 v0, vcc, v43, v0
	v_addc_co_u32_e32 v1, vcc, v12, v1, vcc
	global_store_dwordx2 v[0:1], v[2:3], off
	v_mov_b32_e32 v2, v25
	v_mad_u64_u32 v[2:3], s[2:3], s13, v26, v[2:3]
	v_mov_b32_e32 v5, v23
	v_lshlrev_b64 v[0:1], 3, v[4:5]
	v_add_u32_e32 v4, 0x30c, v61
	v_mov_b32_e32 v25, v2
	v_mad_u64_u32 v[2:3], s[2:3], s12, v4, 0
	v_add_co_u32_e32 v0, vcc, v43, v0
	v_addc_co_u32_e32 v1, vcc, v12, v1, vcc
	v_mad_u64_u32 v[3:4], s[2:3], s13, v4, v[3:4]
	v_add_u32_e32 v23, 0x68, v61
	global_store_dwordx2 v[0:1], v[31:32], off
	v_lshlrev_b64 v[0:1], 3, v[24:25]
	v_mad_u64_u32 v[4:5], s[2:3], s12, v23, 0
	v_add_co_u32_e32 v0, vcc, v43, v0
	v_addc_co_u32_e32 v1, vcc, v12, v1, vcc
	global_store_dwordx2 v[0:1], v[49:50], off
	v_lshlrev_b64 v[0:1], 3, v[2:3]
	v_mov_b32_e32 v2, v5
	v_mad_u64_u32 v[2:3], s[2:3], s13, v23, v[2:3]
	v_add_co_u32_e32 v0, vcc, v43, v0
	v_addc_co_u32_e32 v1, vcc, v12, v1, vcc
	v_mov_b32_e32 v5, v2
	global_store_dwordx2 v[0:1], v[13:14], off
	v_lshlrev_b64 v[0:1], 3, v[4:5]
	v_add_u32_e32 v4, 0x1d4, v61
	v_mad_u64_u32 v[2:3], s[2:3], s12, v4, 0
	v_or_b32_e32 v13, 0x340, v61
	v_add_co_u32_e32 v0, vcc, v43, v0
	v_mad_u64_u32 v[3:4], s[2:3], s13, v4, v[3:4]
	v_mad_u64_u32 v[4:5], s[2:3], s12, v13, 0
	v_addc_co_u32_e32 v1, vcc, v12, v1, vcc
	global_store_dwordx2 v[0:1], v[47:48], off
	v_lshlrev_b64 v[0:1], 3, v[2:3]
	v_mov_b32_e32 v2, v5
	v_mad_u64_u32 v[2:3], s[2:3], s13, v13, v[2:3]
	v_add_co_u32_e32 v0, vcc, v43, v0
	v_addc_co_u32_e32 v1, vcc, v12, v1, vcc
	v_mov_b32_e32 v5, v2
	global_store_dwordx2 v[0:1], v[45:46], off
	v_lshlrev_b64 v[0:1], 3, v[4:5]
	v_add_u32_e32 v4, 0x9c, v61
	v_mad_u64_u32 v[2:3], s[2:3], s12, v4, 0
	v_add_co_u32_e32 v0, vcc, v43, v0
	v_mad_u64_u32 v[3:4], s[2:3], s13, v4, v[3:4]
	v_mad_u64_u32 v[4:5], s[2:3], s12, v63, 0
	v_addc_co_u32_e32 v1, vcc, v12, v1, vcc
	global_store_dwordx2 v[0:1], v[15:16], off
	v_lshlrev_b64 v[0:1], 3, v[2:3]
	v_mov_b32_e32 v2, v5
	v_mad_u64_u32 v[2:3], s[2:3], s13, v63, v[2:3]
	v_add_co_u32_e32 v0, vcc, v43, v0
	v_addc_co_u32_e32 v1, vcc, v12, v1, vcc
	v_mov_b32_e32 v5, v2
	global_store_dwordx2 v[0:1], v[29:30], off
	v_lshlrev_b64 v[0:1], 3, v[4:5]
	v_add_u32_e32 v4, 0x374, v61
	v_mad_u64_u32 v[2:3], s[2:3], s12, v4, 0
	s_mov_b32 s1, 0x5a05a05b
	v_add_co_u32_e32 v0, vcc, v43, v0
	v_mad_u64_u32 v[3:4], s[2:3], s13, v4, v[3:4]
	v_add_u32_e32 v4, 0xd0, v61
	v_lshrrev_b32_e32 v5, 2, v4
	v_mul_hi_u32 v5, v5, s1
	v_addc_co_u32_e32 v1, vcc, v12, v1, vcc
	s_movk_i32 s0, 0x2d8
	global_store_dwordx2 v[0:1], v[37:38], off
	v_lshlrev_b64 v[0:1], 3, v[2:3]
	v_lshrrev_b32_e32 v2, 5, v5
	v_mad_u32_u24 v13, v2, s0, v4
	v_mad_u64_u32 v[2:3], s[2:3], s12, v13, 0
	v_add_u32_e32 v14, 0x16c, v13
	v_add_co_u32_e32 v0, vcc, v43, v0
	v_mad_u64_u32 v[3:4], s[2:3], s13, v13, v[3:4]
	v_mad_u64_u32 v[4:5], s[2:3], s12, v14, 0
	v_addc_co_u32_e32 v1, vcc, v12, v1, vcc
	global_store_dwordx2 v[0:1], v[17:18], off
	v_lshlrev_b64 v[0:1], 3, v[2:3]
	v_mov_b32_e32 v2, v5
	v_mad_u64_u32 v[2:3], s[2:3], s13, v14, v[2:3]
	v_add_co_u32_e32 v0, vcc, v43, v0
	v_addc_co_u32_e32 v1, vcc, v12, v1, vcc
	v_mov_b32_e32 v5, v2
	global_store_dwordx2 v[0:1], v[41:42], off
	v_lshlrev_b64 v[0:1], 3, v[4:5]
	v_add_u32_e32 v4, 0x2d8, v13
	v_mad_u64_u32 v[2:3], s[2:3], s12, v4, 0
	v_add_co_u32_e32 v0, vcc, v43, v0
	v_mad_u64_u32 v[3:4], s[2:3], s13, v4, v[3:4]
	v_add_u32_e32 v4, 0x104, v61
	v_lshrrev_b32_e32 v5, 2, v4
	v_mul_hi_u32 v5, v5, s1
	v_addc_co_u32_e32 v1, vcc, v12, v1, vcc
	global_store_dwordx2 v[0:1], v[54:55], off
	v_lshlrev_b64 v[0:1], 3, v[2:3]
	v_lshrrev_b32_e32 v2, 5, v5
	v_mad_u32_u24 v13, v2, s0, v4
	v_mad_u64_u32 v[2:3], s[2:3], s12, v13, 0
	v_add_u32_e32 v14, 0x16c, v13
	v_add_co_u32_e32 v0, vcc, v43, v0
	v_mad_u64_u32 v[3:4], s[2:3], s13, v13, v[3:4]
	v_mad_u64_u32 v[4:5], s[2:3], s12, v14, 0
	v_addc_co_u32_e32 v1, vcc, v12, v1, vcc
	global_store_dwordx2 v[0:1], v[19:20], off
	v_lshlrev_b64 v[0:1], 3, v[2:3]
	v_mov_b32_e32 v2, v5
	v_mad_u64_u32 v[2:3], s[2:3], s13, v14, v[2:3]
	v_add_co_u32_e32 v0, vcc, v43, v0
	v_addc_co_u32_e32 v1, vcc, v12, v1, vcc
	v_mov_b32_e32 v5, v2
	global_store_dwordx2 v[0:1], v[39:40], off
	v_lshlrev_b64 v[0:1], 3, v[4:5]
	v_add_u32_e32 v4, 0x2d8, v13
	v_add_u32_e32 v5, 0x138, v61
	v_mad_u64_u32 v[2:3], s[2:3], s12, v4, 0
	v_lshrrev_b32_e32 v13, 2, v5
	v_mul_hi_u32 v13, v13, s1
	v_mad_u64_u32 v[3:4], s[2:3], s13, v4, v[3:4]
	v_add_co_u32_e32 v0, vcc, v43, v0
	v_lshrrev_b32_e32 v4, 5, v13
	v_mad_u32_u24 v13, v4, s0, v5
	v_mad_u64_u32 v[4:5], s[0:1], s12, v13, 0
	v_addc_co_u32_e32 v1, vcc, v12, v1, vcc
	global_store_dwordx2 v[0:1], v[21:22], off
	v_lshlrev_b64 v[0:1], 3, v[2:3]
	v_mov_b32_e32 v2, v5
	v_mad_u64_u32 v[2:3], s[0:1], s13, v13, v[2:3]
	v_add_co_u32_e32 v0, vcc, v43, v0
	v_addc_co_u32_e32 v1, vcc, v12, v1, vcc
	v_mov_b32_e32 v5, v2
	global_store_dwordx2 v[0:1], v[35:36], off
	v_lshlrev_b64 v[0:1], 3, v[4:5]
	v_add_u32_e32 v4, 0x16c, v13
	v_mad_u64_u32 v[2:3], s[0:1], s12, v4, 0
	v_add_u32_e32 v13, 0x2d8, v13
	v_add_co_u32_e32 v0, vcc, v43, v0
	v_mad_u64_u32 v[3:4], s[0:1], s13, v4, v[3:4]
	v_mad_u64_u32 v[4:5], s[0:1], s12, v13, 0
	v_addc_co_u32_e32 v1, vcc, v12, v1, vcc
	global_store_dwordx2 v[0:1], v[10:11], off
	v_lshlrev_b64 v[0:1], 3, v[2:3]
	v_mov_b32_e32 v2, v5
	v_mad_u64_u32 v[2:3], s[0:1], s13, v13, v[2:3]
	v_add_co_u32_e32 v0, vcc, v43, v0
	v_addc_co_u32_e32 v1, vcc, v12, v1, vcc
	v_mov_b32_e32 v5, v2
	global_store_dwordx2 v[0:1], v[8:9], off
	v_lshlrev_b64 v[0:1], 3, v[4:5]
	v_add_co_u32_e32 v0, vcc, v43, v0
	v_addc_co_u32_e32 v1, vcc, v12, v1, vcc
	global_store_dwordx2 v[0:1], v[6:7], off
.LBB0_37:
	s_endpgm
	.section	.rodata,"a",@progbits
	.p2align	6, 0x0
	.amdhsa_kernel fft_rtc_back_len1092_factors_2_2_13_7_3_wgs_52_tpt_52_halfLds_sp_ip_CI_sbrr_dirReg
		.amdhsa_group_segment_fixed_size 0
		.amdhsa_private_segment_fixed_size 0
		.amdhsa_kernarg_size 88
		.amdhsa_user_sgpr_count 6
		.amdhsa_user_sgpr_private_segment_buffer 1
		.amdhsa_user_sgpr_dispatch_ptr 0
		.amdhsa_user_sgpr_queue_ptr 0
		.amdhsa_user_sgpr_kernarg_segment_ptr 1
		.amdhsa_user_sgpr_dispatch_id 0
		.amdhsa_user_sgpr_flat_scratch_init 0
		.amdhsa_user_sgpr_private_segment_size 0
		.amdhsa_uses_dynamic_stack 0
		.amdhsa_system_sgpr_private_segment_wavefront_offset 0
		.amdhsa_system_sgpr_workgroup_id_x 1
		.amdhsa_system_sgpr_workgroup_id_y 0
		.amdhsa_system_sgpr_workgroup_id_z 0
		.amdhsa_system_sgpr_workgroup_info 0
		.amdhsa_system_vgpr_workitem_id 0
		.amdhsa_next_free_vgpr 113
		.amdhsa_next_free_sgpr 24
		.amdhsa_reserve_vcc 1
		.amdhsa_reserve_flat_scratch 0
		.amdhsa_float_round_mode_32 0
		.amdhsa_float_round_mode_16_64 0
		.amdhsa_float_denorm_mode_32 3
		.amdhsa_float_denorm_mode_16_64 3
		.amdhsa_dx10_clamp 1
		.amdhsa_ieee_mode 1
		.amdhsa_fp16_overflow 0
		.amdhsa_exception_fp_ieee_invalid_op 0
		.amdhsa_exception_fp_denorm_src 0
		.amdhsa_exception_fp_ieee_div_zero 0
		.amdhsa_exception_fp_ieee_overflow 0
		.amdhsa_exception_fp_ieee_underflow 0
		.amdhsa_exception_fp_ieee_inexact 0
		.amdhsa_exception_int_div_zero 0
	.end_amdhsa_kernel
	.text
.Lfunc_end0:
	.size	fft_rtc_back_len1092_factors_2_2_13_7_3_wgs_52_tpt_52_halfLds_sp_ip_CI_sbrr_dirReg, .Lfunc_end0-fft_rtc_back_len1092_factors_2_2_13_7_3_wgs_52_tpt_52_halfLds_sp_ip_CI_sbrr_dirReg
                                        ; -- End function
	.section	.AMDGPU.csdata,"",@progbits
; Kernel info:
; codeLenInByte = 16348
; NumSgprs: 28
; NumVgprs: 113
; ScratchSize: 0
; MemoryBound: 0
; FloatMode: 240
; IeeeMode: 1
; LDSByteSize: 0 bytes/workgroup (compile time only)
; SGPRBlocks: 3
; VGPRBlocks: 28
; NumSGPRsForWavesPerEU: 28
; NumVGPRsForWavesPerEU: 113
; Occupancy: 2
; WaveLimiterHint : 1
; COMPUTE_PGM_RSRC2:SCRATCH_EN: 0
; COMPUTE_PGM_RSRC2:USER_SGPR: 6
; COMPUTE_PGM_RSRC2:TRAP_HANDLER: 0
; COMPUTE_PGM_RSRC2:TGID_X_EN: 1
; COMPUTE_PGM_RSRC2:TGID_Y_EN: 0
; COMPUTE_PGM_RSRC2:TGID_Z_EN: 0
; COMPUTE_PGM_RSRC2:TIDIG_COMP_CNT: 0
	.type	__hip_cuid_27e17a1d5140db84,@object ; @__hip_cuid_27e17a1d5140db84
	.section	.bss,"aw",@nobits
	.globl	__hip_cuid_27e17a1d5140db84
__hip_cuid_27e17a1d5140db84:
	.byte	0                               ; 0x0
	.size	__hip_cuid_27e17a1d5140db84, 1

	.ident	"AMD clang version 19.0.0git (https://github.com/RadeonOpenCompute/llvm-project roc-6.4.0 25133 c7fe45cf4b819c5991fe208aaa96edf142730f1d)"
	.section	".note.GNU-stack","",@progbits
	.addrsig
	.addrsig_sym __hip_cuid_27e17a1d5140db84
	.amdgpu_metadata
---
amdhsa.kernels:
  - .args:
      - .actual_access:  read_only
        .address_space:  global
        .offset:         0
        .size:           8
        .value_kind:     global_buffer
      - .offset:         8
        .size:           8
        .value_kind:     by_value
      - .actual_access:  read_only
        .address_space:  global
        .offset:         16
        .size:           8
        .value_kind:     global_buffer
      - .actual_access:  read_only
        .address_space:  global
        .offset:         24
        .size:           8
        .value_kind:     global_buffer
      - .offset:         32
        .size:           8
        .value_kind:     by_value
      - .actual_access:  read_only
        .address_space:  global
        .offset:         40
        .size:           8
        .value_kind:     global_buffer
      - .actual_access:  read_only
        .address_space:  global
        .offset:         48
        .size:           8
        .value_kind:     global_buffer
      - .offset:         56
        .size:           4
        .value_kind:     by_value
      - .actual_access:  read_only
        .address_space:  global
        .offset:         64
        .size:           8
        .value_kind:     global_buffer
      - .actual_access:  read_only
        .address_space:  global
        .offset:         72
        .size:           8
        .value_kind:     global_buffer
      - .address_space:  global
        .offset:         80
        .size:           8
        .value_kind:     global_buffer
    .group_segment_fixed_size: 0
    .kernarg_segment_align: 8
    .kernarg_segment_size: 88
    .language:       OpenCL C
    .language_version:
      - 2
      - 0
    .max_flat_workgroup_size: 52
    .name:           fft_rtc_back_len1092_factors_2_2_13_7_3_wgs_52_tpt_52_halfLds_sp_ip_CI_sbrr_dirReg
    .private_segment_fixed_size: 0
    .sgpr_count:     28
    .sgpr_spill_count: 0
    .symbol:         fft_rtc_back_len1092_factors_2_2_13_7_3_wgs_52_tpt_52_halfLds_sp_ip_CI_sbrr_dirReg.kd
    .uniform_work_group_size: 1
    .uses_dynamic_stack: false
    .vgpr_count:     113
    .vgpr_spill_count: 0
    .wavefront_size: 64
amdhsa.target:   amdgcn-amd-amdhsa--gfx906
amdhsa.version:
  - 1
  - 2
...

	.end_amdgpu_metadata
